;; amdgpu-corpus repo=ROCm/rocFFT kind=compiled arch=gfx1030 opt=O3
	.text
	.amdgcn_target "amdgcn-amd-amdhsa--gfx1030"
	.amdhsa_code_object_version 6
	.protected	bluestein_single_fwd_len150_dim1_dp_op_CI_CI ; -- Begin function bluestein_single_fwd_len150_dim1_dp_op_CI_CI
	.globl	bluestein_single_fwd_len150_dim1_dp_op_CI_CI
	.p2align	8
	.type	bluestein_single_fwd_len150_dim1_dp_op_CI_CI,@function
bluestein_single_fwd_len150_dim1_dp_op_CI_CI: ; @bluestein_single_fwd_len150_dim1_dp_op_CI_CI
; %bb.0:
	s_load_dwordx4 s[16:19], s[4:5], 0x28
	v_mul_u32_u24_e32 v1, 0x3334, v0
	s_mov_b64 s[30:31], s[2:3]
	s_mov_b64 s[28:29], s[0:1]
	s_mov_b32 s0, exec_lo
	s_add_u32 s28, s28, s7
	v_lshrrev_b32_e32 v1, 16, v1
	s_addc_u32 s29, s29, 0
	v_mad_u64_u32 v[2:3], null, s6, 12, v[1:2]
	v_mov_b32_e32 v3, 0
	s_waitcnt lgkmcnt(0)
	v_cmpx_gt_u64_e64 s[16:17], v[2:3]
	s_cbranch_execz .LBB0_2
; %bb.1:
	s_clause 0x1
	s_load_dwordx4 s[0:3], s[4:5], 0x18
	s_load_dwordx4 s[8:11], s[4:5], 0x0
	v_mul_lo_u16 v1, v1, 5
	v_mov_b32_e32 v39, v2
	s_mov_b32 s17, 0xbfee6f0e
	s_mov_b32 s23, 0xbfe9e377
	;; [unrolled: 1-line block ×3, first 2 shown]
	v_sub_nc_u16 v42, v0, v1
	s_mov_b32 s24, 0xe8584caa
	s_mov_b32 s25, 0x3febb67a
	s_load_dwordx2 s[4:5], s[4:5], 0x38
	v_and_b32_e32 v6, 0xffff, v42
	v_mul_lo_u16 v42, v42, 10
	v_mov_b32_e32 v7, v6
	v_and_b32_e32 v42, 0xffff, v42
	s_waitcnt lgkmcnt(0)
	s_load_dwordx4 s[12:15], s[0:1], 0x0
	v_or_b32_e32 v8, 0x78, v7
	v_mov_b32_e32 v9, v7
	buffer_store_dword v8, off, s[28:31], 0 offset:4 ; 4-byte Folded Spill
	v_mov_b32_e32 v13, v9
	v_or_b32_e32 v12, 40, v13
	v_mov_b32_e32 v206, v13
	v_mov_b32_e32 v254, v12
	s_waitcnt lgkmcnt(0)
	v_mad_u64_u32 v[0:1], null, s14, v2, 0
	v_mad_u64_u32 v[2:3], null, s12, v6, 0
	s_mul_i32 s0, s13, 0xf0
	s_mul_hi_u32 s6, s12, 0xf0
	s_mul_i32 s1, s12, 0xf0
	s_add_i32 s0, s6, s0
	s_mul_hi_u32 s14, s12, 0x1e0
	s_mul_i32 s7, s12, 0x1e0
	v_mad_u64_u32 v[4:5], null, s15, v39, v[1:2]
	v_mad_u64_u32 v[5:6], null, s13, v7, v[3:4]
	;; [unrolled: 1-line block ×3, first 2 shown]
	v_mov_b32_e32 v1, v4
	v_mov_b32_e32 v3, v5
	v_lshlrev_b64 v[4:5], 4, v[0:1]
	v_lshlrev_b32_e32 v0, 4, v9
	v_lshlrev_b64 v[1:2], 4, v[2:3]
	v_mov_b32_e32 v3, v7
	v_add_co_u32 v16, vcc_lo, s18, v4
	v_add_co_ci_u32_e32 v19, vcc_lo, s19, v5, vcc_lo
	v_mad_u64_u32 v[7:8], null, s13, v8, v[3:4]
	v_or_b32_e32 v8, 0x50, v13
	v_add_co_u32 v17, vcc_lo, v16, v1
	v_add_co_ci_u32_e32 v18, vcc_lo, v19, v2, vcc_lo
	v_mad_u64_u32 v[9:10], null, s12, v8, 0
	v_lshlrev_b64 v[5:6], 4, v[6:7]
	global_load_dwordx4 v[103:106], v0, s[8:9]
	global_load_dwordx4 v[1:4], v[17:18], off
	buffer_store_dword v8, off, s[28:31], 0 ; 4-byte Folded Spill
	v_mad_u64_u32 v[13:14], null, s12, v12, 0
	v_add_co_u32 v40, s6, s8, v0
	v_add_co_u32 v5, vcc_lo, v16, v5
	v_mov_b32_e32 v7, v10
	v_add_co_ci_u32_e32 v6, vcc_lo, v19, v6, vcc_lo
	v_add_co_ci_u32_e64 v41, null, s9, 0, s6
	v_mad_u64_u32 v[10:11], null, s13, v8, v[7:8]
	global_load_dwordx4 v[67:70], v0, s[8:9] offset:1920
	global_load_dwordx4 v[5:8], v[5:6], off
	v_mov_b32_e32 v11, v14
	buffer_store_dword v254, off, s[28:31], 0 offset:500 ; 4-byte Folded Spill
	s_mul_i32 s6, s13, 0x1e0
	s_mov_b32 s18, 0x9b97f4a8
	s_add_i32 s6, s14, s6
	v_lshlrev_b64 v[9:10], 4, v[9:10]
	v_mad_u64_u32 v[14:15], null, s13, v12, v[11:12]
	s_mulk_i32 s13, 0xf7e0
	s_mov_b32 s14, 0x134454ff
	s_sub_i32 s13, s13, s12
	v_add_co_u32 v9, vcc_lo, v16, v9
	v_add_co_ci_u32_e32 v10, vcc_lo, v19, v10, vcc_lo
	global_load_dwordx4 v[63:66], v0, s[8:9] offset:1280
	global_load_dwordx4 v[9:12], v[9:10], off
	v_lshlrev_b64 v[13:14], 4, v[13:14]
	s_mov_b32 s15, 0x3fee6f0e
	s_mov_b32 s16, s14
	s_mov_b32 s19, 0x3fe9e377
	s_mov_b32 s22, s18
	v_add_co_u32 v13, vcc_lo, v16, v13
	v_add_co_ci_u32_e32 v14, vcc_lo, v19, v14, vcc_lo
	global_load_dwordx4 v[59:62], v0, s[8:9] offset:640
	global_load_dwordx4 v[13:16], v[13:14], off
	v_add_co_u32 v21, vcc_lo, v17, s1
	v_add_co_ci_u32_e32 v22, vcc_lo, s0, v18, vcc_lo
	global_load_dwordx4 v[95:98], v0, s[8:9] offset:240
	global_load_dwordx4 v[17:20], v[21:22], off
	;; [unrolled: 4-line block ×8, first 2 shown]
	buffer_store_dword v40, off, s[28:31], 0 offset:680 ; 4-byte Folded Spill
	v_add_co_u32 v40, vcc_lo, 0x800, v40
	buffer_store_dword v41, off, s[28:31], 0 offset:684 ; 4-byte Folded Spill
	v_add_co_ci_u32_e32 v41, vcc_lo, 0, v41, vcc_lo
	v_add_co_u32 v37, vcc_lo, v37, s7
	v_add_co_ci_u32_e32 v38, vcc_lo, s6, v38, vcc_lo
	global_load_dwordx4 v[87:90], v[40:41], off offset:112
	global_load_dwordx4 v[51:54], v[37:38], off
	v_mad_u64_u32 v[37:38], null, 0xfffff7e0, s12, v[37:38]
	v_add_nc_u32_e32 v38, s13, v38
	s_waitcnt vmcnt(22)
	v_mul_f64 v[55:56], v[3:4], v[105:106]
	v_mul_f64 v[57:58], v[1:2], v[105:106]
	buffer_store_dword v103, off, s[28:31], 0 offset:480 ; 4-byte Folded Spill
	buffer_store_dword v104, off, s[28:31], 0 offset:484 ; 4-byte Folded Spill
	buffer_store_dword v105, off, s[28:31], 0 offset:488 ; 4-byte Folded Spill
	buffer_store_dword v106, off, s[28:31], 0 offset:492 ; 4-byte Folded Spill
	s_waitcnt vmcnt(21)
	buffer_store_dword v67, off, s[28:31], 0 offset:216 ; 4-byte Folded Spill
	buffer_store_dword v68, off, s[28:31], 0 offset:220 ; 4-byte Folded Spill
	buffer_store_dword v69, off, s[28:31], 0 offset:224 ; 4-byte Folded Spill
	buffer_store_dword v70, off, s[28:31], 0 offset:228 ; 4-byte Folded Spill
	s_waitcnt vmcnt(19)
	;; [unrolled: 5-line block ×7, first 2 shown]
	buffer_store_dword v71, off, s[28:31], 0 offset:384 ; 4-byte Folded Spill
	buffer_store_dword v72, off, s[28:31], 0 offset:388 ; 4-byte Folded Spill
	;; [unrolled: 1-line block ×4, first 2 shown]
	v_fma_f64 v[1:2], v[1:2], v[103:104], v[55:56]
	v_fma_f64 v[3:4], v[3:4], v[103:104], -v[57:58]
	v_mul_f64 v[55:56], v[7:8], v[69:70]
	v_mul_f64 v[57:58], v[5:6], v[69:70]
	v_fma_f64 v[5:6], v[5:6], v[67:68], v[55:56]
	v_fma_f64 v[7:8], v[7:8], v[67:68], -v[57:58]
	v_mul_f64 v[55:56], v[11:12], v[65:66]
	v_mul_f64 v[57:58], v[9:10], v[65:66]
	v_fma_f64 v[9:10], v[9:10], v[63:64], v[55:56]
	v_fma_f64 v[11:12], v[11:12], v[63:64], -v[57:58]
	v_mul_f64 v[55:56], v[15:16], v[61:62]
	v_mul_f64 v[57:58], v[13:14], v[61:62]
	v_fma_f64 v[13:14], v[13:14], v[59:60], v[55:56]
	v_fma_f64 v[15:16], v[15:16], v[59:60], -v[57:58]
	v_mul_f64 v[55:56], v[19:20], v[97:98]
	v_mul_f64 v[57:58], v[17:18], v[97:98]
	v_fma_f64 v[17:18], v[17:18], v[95:96], v[55:56]
	v_fma_f64 v[19:20], v[19:20], v[95:96], -v[57:58]
	v_mul_f64 v[55:56], v[23:24], v[101:102]
	v_mul_f64 v[57:58], v[21:22], v[101:102]
	v_fma_f64 v[21:22], v[21:22], v[99:100], v[55:56]
	v_fma_f64 v[23:24], v[23:24], v[99:100], -v[57:58]
	v_mul_f64 v[55:56], v[27:28], v[85:86]
	v_mul_f64 v[57:58], v[25:26], v[85:86]
	v_fma_f64 v[25:26], v[25:26], v[83:84], v[55:56]
	v_fma_f64 v[27:28], v[27:28], v[83:84], -v[57:58]
	s_waitcnt vmcnt(8)
	v_mul_f64 v[55:56], v[31:32], v[73:74]
	v_mul_f64 v[57:58], v[29:30], v[73:74]
	v_fma_f64 v[29:30], v[29:30], v[71:72], v[55:56]
	v_fma_f64 v[31:32], v[31:32], v[71:72], -v[57:58]
	s_waitcnt vmcnt(6)
	v_mul_f64 v[55:56], v[35:36], v[81:82]
	v_mul_f64 v[57:58], v[33:34], v[81:82]
	buffer_store_dword v79, off, s[28:31], 0 offset:400 ; 4-byte Folded Spill
	buffer_store_dword v80, off, s[28:31], 0 offset:404 ; 4-byte Folded Spill
	buffer_store_dword v81, off, s[28:31], 0 offset:408 ; 4-byte Folded Spill
	buffer_store_dword v82, off, s[28:31], 0 offset:412 ; 4-byte Folded Spill
	s_waitcnt vmcnt(5)
	buffer_store_dword v75, off, s[28:31], 0 offset:416 ; 4-byte Folded Spill
	buffer_store_dword v76, off, s[28:31], 0 offset:420 ; 4-byte Folded Spill
	buffer_store_dword v77, off, s[28:31], 0 offset:424 ; 4-byte Folded Spill
	buffer_store_dword v78, off, s[28:31], 0 offset:428 ; 4-byte Folded Spill
	s_waitcnt vmcnt(3)
	;; [unrolled: 5-line block ×3, first 2 shown]
	buffer_store_dword v87, off, s[28:31], 0 offset:296 ; 4-byte Folded Spill
	buffer_store_dword v88, off, s[28:31], 0 offset:300 ; 4-byte Folded Spill
	;; [unrolled: 1-line block ×4, first 2 shown]
	global_load_dwordx4 v[63:66], v0, s[8:9] offset:80
	s_waitcnt vmcnt(0)
	buffer_store_dword v63, off, s[28:31], 0 offset:312 ; 4-byte Folded Spill
	buffer_store_dword v64, off, s[28:31], 0 offset:316 ; 4-byte Folded Spill
	;; [unrolled: 1-line block ×4, first 2 shown]
	v_fma_f64 v[33:34], v[33:34], v[79:80], v[55:56]
	v_fma_f64 v[35:36], v[35:36], v[79:80], -v[57:58]
	v_mul_f64 v[55:56], v[45:46], v[77:78]
	v_mul_f64 v[57:58], v[43:44], v[77:78]
	global_load_dwordx4 v[67:70], v0, s[8:9] offset:320
	v_fma_f64 v[43:44], v[43:44], v[75:76], v[55:56]
	v_fma_f64 v[45:46], v[45:46], v[75:76], -v[57:58]
	v_mul_f64 v[55:56], v[49:50], v[93:94]
	v_mul_f64 v[57:58], v[47:48], v[93:94]
	v_fma_f64 v[47:48], v[47:48], v[91:92], v[55:56]
	v_fma_f64 v[49:50], v[49:50], v[91:92], -v[57:58]
	v_mul_f64 v[55:56], v[53:54], v[89:90]
	v_mul_f64 v[57:58], v[51:52], v[89:90]
	v_fma_f64 v[51:52], v[51:52], v[87:88], v[55:56]
	v_fma_f64 v[53:54], v[53:54], v[87:88], -v[57:58]
	global_load_dwordx4 v[55:58], v[37:38], off
	v_add_co_u32 v37, vcc_lo, v37, s1
	v_add_co_ci_u32_e32 v38, vcc_lo, s0, v38, vcc_lo
	s_waitcnt vmcnt(1)
	buffer_store_dword v67, off, s[28:31], 0 offset:328 ; 4-byte Folded Spill
	buffer_store_dword v68, off, s[28:31], 0 offset:332 ; 4-byte Folded Spill
	;; [unrolled: 1-line block ×4, first 2 shown]
	global_load_dwordx4 v[71:74], v0, s[8:9] offset:560
	s_waitcnt vmcnt(1)
	v_mul_f64 v[59:60], v[57:58], v[65:66]
	v_mul_f64 v[61:62], v[55:56], v[65:66]
	v_fma_f64 v[55:56], v[55:56], v[63:64], v[59:60]
	v_fma_f64 v[57:58], v[57:58], v[63:64], -v[61:62]
	global_load_dwordx4 v[59:62], v[37:38], off
	v_add_co_u32 v37, vcc_lo, v37, s1
	v_add_co_ci_u32_e32 v38, vcc_lo, s0, v38, vcc_lo
	s_waitcnt vmcnt(1)
	buffer_store_dword v71, off, s[28:31], 0 offset:344 ; 4-byte Folded Spill
	buffer_store_dword v72, off, s[28:31], 0 offset:348 ; 4-byte Folded Spill
	;; [unrolled: 1-line block ×4, first 2 shown]
	s_waitcnt vmcnt(0)
	v_mul_f64 v[63:64], v[61:62], v[69:70]
	v_mul_f64 v[65:66], v[59:60], v[69:70]
	v_fma_f64 v[59:60], v[59:60], v[67:68], v[63:64]
	v_fma_f64 v[61:62], v[61:62], v[67:68], -v[65:66]
	global_load_dwordx4 v[63:66], v[37:38], off
	v_add_co_u32 v37, vcc_lo, v37, s1
	v_add_co_ci_u32_e32 v38, vcc_lo, s0, v38, vcc_lo
	s_waitcnt vmcnt(0)
	v_mul_f64 v[67:68], v[65:66], v[73:74]
	v_mul_f64 v[69:70], v[63:64], v[73:74]
	v_fma_f64 v[120:121], v[63:64], v[71:72], v[67:68]
	v_fma_f64 v[122:123], v[65:66], v[71:72], -v[69:70]
	global_load_dwordx4 v[71:74], v0, s[8:9] offset:800
	s_waitcnt vmcnt(0)
	buffer_store_dword v71, off, s[28:31], 0 offset:280 ; 4-byte Folded Spill
	buffer_store_dword v72, off, s[28:31], 0 offset:284 ; 4-byte Folded Spill
	buffer_store_dword v73, off, s[28:31], 0 offset:288 ; 4-byte Folded Spill
	buffer_store_dword v74, off, s[28:31], 0 offset:292 ; 4-byte Folded Spill
	global_load_dwordx4 v[63:66], v[37:38], off
	v_add_co_u32 v37, vcc_lo, v37, s1
	v_add_co_ci_u32_e32 v38, vcc_lo, s0, v38, vcc_lo
	s_waitcnt vmcnt(0)
	v_mul_f64 v[67:68], v[65:66], v[73:74]
	v_mul_f64 v[69:70], v[63:64], v[73:74]
	v_fma_f64 v[124:125], v[63:64], v[71:72], v[67:68]
	v_fma_f64 v[126:127], v[65:66], v[71:72], -v[69:70]
	global_load_dwordx4 v[71:74], v0, s[8:9] offset:1040
	s_waitcnt vmcnt(0)
	buffer_store_dword v71, off, s[28:31], 0 offset:264 ; 4-byte Folded Spill
	buffer_store_dword v72, off, s[28:31], 0 offset:268 ; 4-byte Folded Spill
	buffer_store_dword v73, off, s[28:31], 0 offset:272 ; 4-byte Folded Spill
	buffer_store_dword v74, off, s[28:31], 0 offset:276 ; 4-byte Folded Spill
	;; [unrolled: 14-line block ×5, first 2 shown]
	global_load_dwordx4 v[63:66], v[37:38], off
	v_add_co_u32 v37, vcc_lo, v37, s1
	v_add_co_ci_u32_e32 v38, vcc_lo, s0, v38, vcc_lo
	s_waitcnt vmcnt(0)
	v_mul_f64 v[67:68], v[65:66], v[73:74]
	v_mul_f64 v[69:70], v[63:64], v[73:74]
	v_fma_f64 v[140:141], v[63:64], v[71:72], v[67:68]
	v_fma_f64 v[142:143], v[65:66], v[71:72], -v[69:70]
	global_load_dwordx4 v[71:74], v[40:41], off offset:192
	s_waitcnt vmcnt(0)
	buffer_store_dword v71, off, s[28:31], 0 offset:184 ; 4-byte Folded Spill
	buffer_store_dword v72, off, s[28:31], 0 offset:188 ; 4-byte Folded Spill
	;; [unrolled: 1-line block ×4, first 2 shown]
	global_load_dwordx4 v[63:66], v[37:38], off
	v_mad_u64_u32 v[37:38], null, 0xfffff7e0, s12, v[37:38]
	v_add_nc_u32_e32 v38, s13, v38
	s_mov_b32 s13, 0xbfe2cf23
	s_waitcnt vmcnt(0)
	v_mul_f64 v[67:68], v[65:66], v[73:74]
	v_mul_f64 v[69:70], v[63:64], v[73:74]
	v_fma_f64 v[144:145], v[63:64], v[71:72], v[67:68]
	v_fma_f64 v[146:147], v[65:66], v[71:72], -v[69:70]
	global_load_dwordx4 v[71:74], v0, s[8:9] offset:160
	s_waitcnt vmcnt(0)
	buffer_store_dword v71, off, s[28:31], 0 offset:168 ; 4-byte Folded Spill
	buffer_store_dword v72, off, s[28:31], 0 offset:172 ; 4-byte Folded Spill
	;; [unrolled: 1-line block ×4, first 2 shown]
	global_load_dwordx4 v[63:66], v[37:38], off
	v_add_co_u32 v37, vcc_lo, v37, s1
	v_add_co_ci_u32_e32 v38, vcc_lo, s0, v38, vcc_lo
	s_waitcnt vmcnt(0)
	v_mul_f64 v[67:68], v[65:66], v[73:74]
	v_mul_f64 v[69:70], v[63:64], v[73:74]
	v_fma_f64 v[148:149], v[63:64], v[71:72], v[67:68]
	v_fma_f64 v[150:151], v[65:66], v[71:72], -v[69:70]
	global_load_dwordx4 v[71:74], v0, s[8:9] offset:400
	s_waitcnt vmcnt(0)
	buffer_store_dword v71, off, s[28:31], 0 offset:152 ; 4-byte Folded Spill
	buffer_store_dword v72, off, s[28:31], 0 offset:156 ; 4-byte Folded Spill
	;; [unrolled: 1-line block ×4, first 2 shown]
	global_load_dwordx4 v[63:66], v[37:38], off
	v_add_co_u32 v37, vcc_lo, v37, s7
	v_add_co_ci_u32_e32 v38, vcc_lo, s6, v38, vcc_lo
	s_mov_b32 s6, 0x372fe950
	s_mov_b32 s7, 0x3fd3c6ef
	;; [unrolled: 1-line block ×3, first 2 shown]
	s_waitcnt vmcnt(0)
	v_mul_f64 v[67:68], v[65:66], v[73:74]
	v_mul_f64 v[69:70], v[63:64], v[73:74]
	v_fma_f64 v[152:153], v[63:64], v[71:72], v[67:68]
	v_fma_f64 v[154:155], v[65:66], v[71:72], -v[69:70]
	global_load_dwordx4 v[71:74], v0, s[8:9] offset:880
	global_load_dwordx4 v[63:66], v[37:38], off
	v_add_co_u32 v37, vcc_lo, v37, s1
	v_add_co_ci_u32_e32 v38, vcc_lo, s0, v38, vcc_lo
	s_waitcnt vmcnt(0)
	v_mul_f64 v[67:68], v[65:66], v[73:74]
	v_mul_f64 v[69:70], v[63:64], v[73:74]
	buffer_store_dword v71, off, s[28:31], 0 offset:56 ; 4-byte Folded Spill
	buffer_store_dword v72, off, s[28:31], 0 offset:60 ; 4-byte Folded Spill
	;; [unrolled: 1-line block ×4, first 2 shown]
	v_fma_f64 v[156:157], v[63:64], v[71:72], v[67:68]
	v_fma_f64 v[158:159], v[65:66], v[71:72], -v[69:70]
	global_load_dwordx4 v[71:74], v0, s[8:9] offset:1120
	s_waitcnt vmcnt(0)
	buffer_store_dword v71, off, s[28:31], 0 offset:24 ; 4-byte Folded Spill
	buffer_store_dword v72, off, s[28:31], 0 offset:28 ; 4-byte Folded Spill
	buffer_store_dword v73, off, s[28:31], 0 offset:32 ; 4-byte Folded Spill
	buffer_store_dword v74, off, s[28:31], 0 offset:36 ; 4-byte Folded Spill
	global_load_dwordx4 v[63:66], v[37:38], off
	v_add_co_u32 v37, vcc_lo, v37, s1
	v_add_co_ci_u32_e32 v38, vcc_lo, s0, v38, vcc_lo
	s_waitcnt vmcnt(0)
	v_mul_f64 v[67:68], v[65:66], v[73:74]
	v_mul_f64 v[69:70], v[63:64], v[73:74]
	v_fma_f64 v[160:161], v[63:64], v[71:72], v[67:68]
	v_fma_f64 v[162:163], v[65:66], v[71:72], -v[69:70]
	global_load_dwordx4 v[71:74], v0, s[8:9] offset:1360
	s_waitcnt vmcnt(0)
	buffer_store_dword v71, off, s[28:31], 0 offset:40 ; 4-byte Folded Spill
	buffer_store_dword v72, off, s[28:31], 0 offset:44 ; 4-byte Folded Spill
	buffer_store_dword v73, off, s[28:31], 0 offset:48 ; 4-byte Folded Spill
	buffer_store_dword v74, off, s[28:31], 0 offset:52 ; 4-byte Folded Spill
	global_load_dwordx4 v[63:66], v[37:38], off
	v_add_co_u32 v37, vcc_lo, v37, s1
	v_add_co_ci_u32_e32 v38, vcc_lo, s0, v38, vcc_lo
	s_waitcnt vmcnt(0)
	v_mul_f64 v[67:68], v[65:66], v[73:74]
	v_mul_f64 v[69:70], v[63:64], v[73:74]
	;; [unrolled: 14-line block ×3, first 2 shown]
	v_fma_f64 v[168:169], v[63:64], v[71:72], v[67:68]
	v_fma_f64 v[170:171], v[65:66], v[71:72], -v[69:70]
	global_load_dwordx4 v[71:74], v0, s[8:9] offset:1840
	s_mov_b32 s8, 0x4755a5e
	s_mov_b32 s9, 0x3fe2cf23
	;; [unrolled: 1-line block ×3, first 2 shown]
	s_waitcnt vmcnt(0)
	buffer_store_dword v71, off, s[28:31], 0 offset:88 ; 4-byte Folded Spill
	buffer_store_dword v72, off, s[28:31], 0 offset:92 ; 4-byte Folded Spill
	buffer_store_dword v73, off, s[28:31], 0 offset:96 ; 4-byte Folded Spill
	buffer_store_dword v74, off, s[28:31], 0 offset:100 ; 4-byte Folded Spill
	global_load_dwordx4 v[63:66], v[37:38], off
	v_add_co_u32 v37, vcc_lo, v37, s1
	v_add_co_ci_u32_e32 v38, vcc_lo, s0, v38, vcc_lo
	s_waitcnt vmcnt(0)
	v_mul_f64 v[67:68], v[65:66], v[73:74]
	v_mul_f64 v[69:70], v[63:64], v[73:74]
	v_fma_f64 v[172:173], v[63:64], v[71:72], v[67:68]
	v_fma_f64 v[174:175], v[65:66], v[71:72], -v[69:70]
	global_load_dwordx4 v[71:74], v[40:41], off offset:32
	s_waitcnt vmcnt(0)
	buffer_store_dword v71, off, s[28:31], 0 offset:136 ; 4-byte Folded Spill
	buffer_store_dword v72, off, s[28:31], 0 offset:140 ; 4-byte Folded Spill
	;; [unrolled: 1-line block ×4, first 2 shown]
	global_load_dwordx4 v[63:66], v[37:38], off
	v_add_co_u32 v37, vcc_lo, v37, s1
	v_add_co_ci_u32_e32 v38, vcc_lo, s0, v38, vcc_lo
	s_waitcnt vmcnt(0)
	v_mul_f64 v[67:68], v[65:66], v[73:74]
	v_mul_f64 v[69:70], v[63:64], v[73:74]
	v_fma_f64 v[176:177], v[63:64], v[71:72], v[67:68]
	v_fma_f64 v[178:179], v[65:66], v[71:72], -v[69:70]
	global_load_dwordx4 v[63:66], v[37:38], off
	global_load_dwordx4 v[69:72], v[40:41], off offset:272
	s_waitcnt vmcnt(0)
	buffer_store_dword v69, off, s[28:31], 0 offset:120 ; 4-byte Folded Spill
	buffer_store_dword v70, off, s[28:31], 0 offset:124 ; 4-byte Folded Spill
	;; [unrolled: 1-line block ×6, first 2 shown]
	v_mul_f64 v[37:38], v[65:66], v[71:72]
	v_mul_f64 v[67:68], v[63:64], v[71:72]
	v_fma_f64 v[180:181], v[63:64], v[69:70], v[37:38]
	v_mul_hi_u32 v37, 0xaaaaaaab, v39
	v_fma_f64 v[182:183], v[65:66], v[69:70], -v[67:68]
	v_lshrrev_b32_e32 v37, 3, v37
	v_mul_lo_u32 v37, v37, 12
	v_sub_nc_u32_e32 v37, v39, v37
	v_mul_u32_u24_e32 v37, 0x96, v37
	v_lshlrev_b32_e32 v67, 4, v37
	v_add_nc_u32_e32 v64, v0, v67
	ds_write_b128 v64, v[1:4]
	ds_write_b128 v64, v[5:8] offset:1920
	ds_write_b128 v64, v[9:12] offset:1280
	;; [unrolled: 1-line block ×29, first 2 shown]
	s_load_dwordx4 s[0:3], s[2:3], 0x0
	s_waitcnt lgkmcnt(0)
	s_waitcnt_vscnt null, 0x0
	s_barrier
	buffer_gl0_inv
	ds_read_b128 v[0:3], v64 offset:960
	ds_read_b128 v[4:7], v64 offset:1440
	ds_read_b128 v[8:11], v64
	ds_read_b128 v[18:21], v64 offset:480
	ds_read_b128 v[28:31], v64 offset:1920
	s_waitcnt lgkmcnt(3)
	v_add_f64 v[12:13], v[0:1], v[4:5]
	s_waitcnt lgkmcnt(1)
	v_add_f64 v[51:52], v[18:19], -v[0:1]
	s_waitcnt lgkmcnt(0)
	v_add_f64 v[14:15], v[18:19], v[28:29]
	v_add_f64 v[16:17], v[20:21], v[30:31]
	v_add_f64 v[59:60], v[0:1], -v[18:19]
	v_add_f64 v[53:54], v[20:21], -v[2:3]
	;; [unrolled: 1-line block ×8, first 2 shown]
	v_fma_f64 v[12:13], v[12:13], -0.5, v[8:9]
	v_fma_f64 v[24:25], v[14:15], -0.5, v[8:9]
	v_add_f64 v[14:15], v[2:3], v[6:7]
	v_fma_f64 v[26:27], v[16:17], -0.5, v[10:11]
	v_add_f64 v[8:9], v[8:9], v[18:19]
	v_add_f64 v[16:17], v[20:21], -v[30:31]
	v_add_f64 v[18:19], v[18:19], -v[28:29]
	v_add_f64 v[65:66], v[59:60], v[65:66]
	v_add_f64 v[68:69], v[61:62], v[68:69]
	v_fma_f64 v[14:15], v[14:15], -0.5, v[10:11]
	v_add_f64 v[10:11], v[10:11], v[20:21]
	v_add_f64 v[8:9], v[8:9], v[0:1]
	v_add_f64 v[20:21], v[2:3], -v[6:7]
	v_add_f64 v[10:11], v[10:11], v[2:3]
	v_add_f64 v[0:1], v[8:9], v[4:5]
	;; [unrolled: 1-line block ×5, first 2 shown]
	ds_read_b128 v[0:3], v64 offset:1200
	ds_read_b128 v[4:7], v64 offset:1680
	;; [unrolled: 1-line block ×3, first 2 shown]
	s_waitcnt lgkmcnt(1)
	v_add_f64 v[28:29], v[0:1], v[4:5]
	v_add_f64 v[86:87], v[2:3], -v[6:7]
	v_add_f64 v[88:89], v[0:1], -v[4:5]
	s_waitcnt lgkmcnt(0)
	v_fma_f64 v[32:33], v[28:29], -0.5, v[8:9]
	ds_read_b128 v[28:31], v64 offset:720
	ds_read_b128 v[43:46], v64 offset:2160
	s_waitcnt lgkmcnt(1)
	v_add_f64 v[78:79], v[28:29], -v[0:1]
	s_waitcnt lgkmcnt(0)
	v_add_f64 v[34:35], v[28:29], v[43:44]
	v_add_f64 v[36:37], v[30:31], v[45:46]
	v_add_f64 v[80:81], v[0:1], -v[28:29]
	v_add_f64 v[82:83], v[30:31], -v[2:3]
	;; [unrolled: 1-line block ×8, first 2 shown]
	v_fma_f64 v[74:75], v[34:35], -0.5, v[8:9]
	v_add_f64 v[34:35], v[2:3], v[6:7]
	v_fma_f64 v[76:77], v[36:37], -0.5, v[10:11]
	v_add_f64 v[8:9], v[8:9], v[28:29]
	v_add_f64 v[36:37], v[30:31], -v[45:46]
	v_add_f64 v[78:79], v[78:79], v[90:91]
	v_add_f64 v[80:81], v[80:81], v[92:93]
	;; [unrolled: 1-line block ×4, first 2 shown]
	v_fma_f64 v[61:62], v[86:87], s[16:17], v[74:75]
	v_fma_f64 v[34:35], v[34:35], -0.5, v[10:11]
	v_add_f64 v[10:11], v[10:11], v[30:31]
	v_add_f64 v[8:9], v[8:9], v[0:1]
	v_fma_f64 v[59:60], v[88:89], s[14:15], v[76:77]
	v_fma_f64 v[61:62], v[36:37], s[8:9], v[61:62]
	v_add_f64 v[10:11], v[10:11], v[2:3]
	v_add_f64 v[0:1], v[8:9], v[4:5]
	v_fma_f64 v[59:60], v[38:39], s[12:13], v[59:60]
	v_fma_f64 v[61:62], v[80:81], s[6:7], v[61:62]
	v_add_f64 v[2:3], v[10:11], v[6:7]
	v_add_f64 v[98:99], v[0:1], v[43:44]
	v_fma_f64 v[59:60], v[84:85], s[6:7], v[59:60]
	v_add_f64 v[100:101], v[2:3], v[45:46]
	ds_read_b128 v[0:3], v64 offset:1040
	ds_read_b128 v[4:7], v64 offset:1520
	;; [unrolled: 1-line block ×5, first 2 shown]
	s_waitcnt lgkmcnt(3)
	v_add_f64 v[28:29], v[0:1], v[4:5]
	s_waitcnt lgkmcnt(1)
	v_add_f64 v[108:109], v[43:44], -v[0:1]
	s_waitcnt lgkmcnt(0)
	v_add_f64 v[30:31], v[43:44], v[47:48]
	v_add_f64 v[104:105], v[45:46], v[49:50]
	v_add_f64 v[110:111], v[0:1], -v[43:44]
	v_add_f64 v[114:115], v[45:46], -v[2:3]
	;; [unrolled: 1-line block ×11, first 2 shown]
	v_fma_f64 v[28:29], v[28:29], -0.5, v[8:9]
	v_fma_f64 v[102:103], v[30:31], -0.5, v[8:9]
	v_add_f64 v[30:31], v[2:3], v[6:7]
	v_fma_f64 v[104:105], v[104:105], -0.5, v[10:11]
	v_add_f64 v[8:9], v[8:9], v[43:44]
	;; [unrolled: 2-line block ×3, first 2 shown]
	v_add_f64 v[8:9], v[8:9], v[0:1]
	v_add_f64 v[10:11], v[10:11], v[2:3]
	;; [unrolled: 1-line block ×6, first 2 shown]
	ds_read_b128 v[0:3], v64 offset:1760
	ds_read_b128 v[4:7], v64 offset:1280
	;; [unrolled: 1-line block ×3, first 2 shown]
	s_waitcnt lgkmcnt(1)
	v_add_f64 v[43:44], v[4:5], v[0:1]
	v_add_f64 v[166:167], v[6:7], -v[2:3]
	v_add_f64 v[168:169], v[4:5], -v[0:1]
	s_waitcnt lgkmcnt(0)
	v_fma_f64 v[158:159], v[43:44], -0.5, v[8:9]
	ds_read_b128 v[43:46], v64 offset:2240
	ds_read_b128 v[47:50], v64 offset:800
	s_waitcnt lgkmcnt(1)
	v_add_f64 v[148:149], v[43:44], -v[0:1]
	s_waitcnt lgkmcnt(0)
	v_add_f64 v[124:125], v[47:48], v[43:44]
	v_add_f64 v[140:141], v[47:48], -v[4:5]
	v_add_f64 v[142:143], v[4:5], -v[47:48]
	;; [unrolled: 1-line block ×9, first 2 shown]
	v_fma_f64 v[136:137], v[124:125], -0.5, v[8:9]
	v_add_f64 v[124:125], v[6:7], v[2:3]
	v_add_f64 v[8:9], v[8:9], v[47:48]
	v_fma_f64 v[160:161], v[124:125], -0.5, v[10:11]
	v_add_f64 v[124:125], v[49:50], v[45:46]
	v_add_f64 v[8:9], v[8:9], v[4:5]
	;; [unrolled: 3-line block ×3, first 2 shown]
	v_add_f64 v[10:11], v[10:11], v[6:7]
	v_add_f64 v[124:125], v[4:5], v[43:44]
	v_add_f64 v[6:7], v[10:11], v[2:3]
	v_add_f64 v[126:127], v[6:7], v[45:46]
	ds_read_b128 v[43:46], v64 offset:160
	ds_read_b128 v[0:3], v64 offset:640
	;; [unrolled: 1-line block ×3, first 2 shown]
	s_waitcnt lgkmcnt(1)
	v_add_f64 v[8:9], v[43:44], v[0:1]
	s_waitcnt lgkmcnt(0)
	v_add_f64 v[174:175], v[0:1], -v[4:5]
	v_add_f64 v[176:177], v[4:5], -v[0:1]
	;; [unrolled: 1-line block ×4, first 2 shown]
	v_add_f64 v[47:48], v[8:9], v[4:5]
	v_add_f64 v[8:9], v[45:46], v[2:3]
	;; [unrolled: 1-line block ×3, first 2 shown]
	ds_read_b128 v[8:11], v64 offset:1600
	s_waitcnt lgkmcnt(0)
	v_add_f64 v[170:171], v[4:5], v[8:9]
	v_add_f64 v[172:173], v[6:7], -v[10:11]
	v_add_f64 v[178:179], v[6:7], v[10:11]
	v_add_f64 v[180:181], v[4:5], -v[8:9]
	ds_read_b128 v[4:7], v64 offset:2080
	s_waitcnt lgkmcnt(0)
	v_add_f64 v[188:189], v[0:1], v[4:5]
	v_add_f64 v[190:191], v[0:1], -v[4:5]
	v_add_f64 v[0:1], v[47:48], v[8:9]
	v_add_f64 v[194:195], v[4:5], -v[8:9]
	v_add_f64 v[196:197], v[8:9], -v[4:5]
	v_add_f64 v[47:48], v[70:71], v[98:99]
	v_add_f64 v[8:9], v[70:71], -v[98:99]
	v_add_f64 v[70:71], v[51:52], v[55:56]
	v_fma_f64 v[51:52], v[36:37], s[14:15], v[32:33]
	v_add_f64 v[186:187], v[2:3], -v[6:7]
	v_add_f64 v[192:193], v[2:3], v[6:7]
	v_add_f64 v[2:3], v[49:50], v[10:11]
	v_add_f64 v[198:199], v[6:7], -v[10:11]
	v_add_f64 v[200:201], v[10:11], -v[6:7]
	v_add_f64 v[49:50], v[72:73], v[100:101]
	v_add_f64 v[10:11], v[72:73], -v[100:101]
	v_add_f64 v[72:73], v[53:54], v[57:58]
	v_fma_f64 v[53:54], v[38:39], s[16:17], v[34:35]
	v_fma_f64 v[32:33], v[36:37], s[16:17], v[32:33]
	v_add_f64 v[202:203], v[0:1], v[4:5]
	v_add_f64 v[4:5], v[120:121], v[124:125]
	v_add_f64 v[0:1], v[120:121], -v[124:125]
	v_fma_f64 v[51:52], v[86:87], s[8:9], v[51:52]
	v_add_f64 v[204:205], v[2:3], v[6:7]
	v_add_f64 v[6:7], v[122:123], v[126:127]
	v_add_f64 v[2:3], v[122:123], -v[126:127]
	v_fma_f64 v[53:54], v[88:89], s[12:13], v[53:54]
	v_fma_f64 v[51:52], v[78:79], s[6:7], v[51:52]
	v_fma_f64 v[53:54], v[82:83], s[6:7], v[53:54]
	v_mul_f64 v[55:56], v[51:52], s[18:19]
	v_mul_f64 v[51:52], v[51:52], s[12:13]
	v_fma_f64 v[55:56], v[53:54], s[8:9], v[55:56]
	v_fma_f64 v[57:58], v[53:54], s[18:19], v[51:52]
	;; [unrolled: 1-line block ×12, first 2 shown]
	v_add_f64 v[51:52], v[90:91], v[55:56]
	v_add_f64 v[55:56], v[90:91], -v[55:56]
	v_mul_f64 v[90:91], v[59:60], s[14:15]
	v_add_f64 v[53:54], v[94:95], v[57:58]
	v_add_f64 v[57:58], v[94:95], -v[57:58]
	v_fma_f64 v[90:91], v[61:62], s[6:7], v[90:91]
	v_mul_f64 v[61:62], v[61:62], s[16:17]
	v_fma_f64 v[92:93], v[59:60], s[6:7], v[61:62]
	v_fma_f64 v[59:60], v[20:21], s[16:17], v[24:25]
	;; [unrolled: 1-line block ×5, first 2 shown]
	v_add_f64 v[70:71], v[140:141], v[148:149]
	v_fma_f64 v[59:60], v[16:17], s[8:9], v[59:60]
	v_fma_f64 v[24:25], v[16:17], s[12:13], v[24:25]
	;; [unrolled: 1-line block ×11, first 2 shown]
	v_add_f64 v[72:73], v[144:145], v[152:153]
	v_add_f64 v[59:60], v[94:95], v[90:91]
	v_add_f64 v[120:121], v[94:95], -v[90:91]
	v_fma_f64 v[24:25], v[18:19], s[8:9], v[24:25]
	v_fma_f64 v[18:19], v[86:87], s[12:13], v[32:33]
	;; [unrolled: 1-line block ×3, first 2 shown]
	v_add_f64 v[61:62], v[96:97], v[92:93]
	v_fma_f64 v[26:27], v[38:39], s[8:9], v[26:27]
	v_add_f64 v[122:123], v[96:97], -v[92:93]
	v_fma_f64 v[68:69], v[68:69], s[6:7], v[24:25]
	v_fma_f64 v[18:19], v[78:79], s[6:7], v[18:19]
	;; [unrolled: 1-line block ×3, first 2 shown]
	v_add_f64 v[78:79], v[142:143], v[150:151]
	v_fma_f64 v[26:27], v[84:85], s[6:7], v[26:27]
	v_mul_f64 v[14:15], v[18:19], s[22:23]
	v_fma_f64 v[24:25], v[36:37], s[12:13], v[24:25]
	v_fma_f64 v[16:17], v[12:13], s[8:9], v[14:15]
	v_mul_f64 v[12:13], v[12:13], s[22:23]
	v_fma_f64 v[24:25], v[80:81], s[6:7], v[24:25]
	v_add_f64 v[80:81], v[146:147], v[154:155]
	ds_read_b128 v[140:143], v64 offset:400
	ds_read_b128 v[144:147], v64 offset:880
	ds_read_b128 v[148:151], v64 offset:1360
	ds_read_b128 v[152:155], v64 offset:1840
	v_fma_f64 v[18:19], v[18:19], s[12:13], v[12:13]
	v_add_f64 v[12:13], v[20:21], v[16:17]
	v_add_f64 v[16:17], v[20:21], -v[16:17]
	v_fma_f64 v[20:21], v[162:163], s[14:15], v[158:159]
	v_mul_f64 v[74:75], v[24:25], s[20:21]
	s_waitcnt lgkmcnt(1)
	v_add_f64 v[90:91], v[146:147], -v[150:151]
	v_add_f64 v[92:93], v[150:151], -v[146:147]
	v_add_f64 v[14:15], v[22:23], v[18:19]
	v_add_f64 v[18:19], v[22:23], -v[18:19]
	v_fma_f64 v[22:23], v[164:165], s[16:17], v[160:161]
	v_fma_f64 v[20:21], v[166:167], s[8:9], v[20:21]
	;; [unrolled: 1-line block ×3, first 2 shown]
	v_mul_f64 v[26:27], v[26:27], s[20:21]
	v_fma_f64 v[22:23], v[168:169], s[12:13], v[22:23]
	v_fma_f64 v[20:21], v[70:71], s[6:7], v[20:21]
	v_add_f64 v[124:125], v[65:66], -v[74:75]
	v_fma_f64 v[76:77], v[24:25], s[16:17], v[26:27]
	v_add_f64 v[24:25], v[65:66], v[74:75]
	v_add_f64 v[65:66], v[108:109], v[128:129]
	;; [unrolled: 1-line block ×3, first 2 shown]
	v_fma_f64 v[22:23], v[72:73], s[6:7], v[22:23]
	v_mul_f64 v[32:33], v[20:21], s[18:19]
	v_mul_f64 v[20:21], v[20:21], s[12:13]
	v_add_f64 v[26:27], v[68:69], v[76:77]
	v_add_f64 v[126:127], v[68:69], -v[76:77]
	v_add_f64 v[68:69], v[114:115], v[132:133]
	v_add_f64 v[76:77], v[116:117], v[134:135]
	v_fma_f64 v[114:115], v[162:163], s[16:17], v[158:159]
	v_fma_f64 v[32:33], v[22:23], s[8:9], v[32:33]
	;; [unrolled: 1-line block ×15, first 2 shown]
	v_add_f64 v[20:21], v[36:37], v[32:33]
	v_add_f64 v[32:33], v[36:37], -v[32:33]
	v_fma_f64 v[36:37], v[168:169], s[14:15], v[138:139]
	v_add_f64 v[22:23], v[38:39], v[34:35]
	v_add_f64 v[34:35], v[38:39], -v[34:35]
	v_fma_f64 v[38:39], v[166:167], s[16:17], v[136:137]
	v_fma_f64 v[36:37], v[164:165], s[12:13], v[36:37]
	;; [unrolled: 1-line block ×5, first 2 shown]
	v_mul_f64 v[82:83], v[36:37], s[14:15]
	v_fma_f64 v[82:83], v[38:39], s[6:7], v[82:83]
	v_mul_f64 v[38:39], v[38:39], s[16:17]
	v_fma_f64 v[84:85], v[36:37], s[6:7], v[38:39]
	v_fma_f64 v[36:37], v[118:119], s[16:17], v[102:103]
	;; [unrolled: 1-line block ×7, first 2 shown]
	v_add_f64 v[36:37], v[86:87], v[82:83]
	v_add_f64 v[128:129], v[86:87], -v[82:83]
	v_fma_f64 v[82:83], v[118:119], s[14:15], v[102:103]
	v_add_f64 v[38:39], v[88:89], v[84:85]
	v_add_f64 v[130:131], v[88:89], -v[84:85]
	v_add_f64 v[84:85], v[148:149], -v[144:145]
	s_waitcnt lgkmcnt(0)
	v_add_f64 v[86:87], v[150:151], v[154:155]
	v_add_f64 v[88:89], v[148:149], -v[152:153]
	v_fma_f64 v[82:83], v[106:107], s[12:13], v[82:83]
	v_fma_f64 v[106:107], v[164:165], s[14:15], v[160:161]
	v_fma_f64 v[86:87], v[86:87], -0.5, v[142:143]
	v_fma_f64 v[74:75], v[74:75], s[6:7], v[82:83]
	v_fma_f64 v[82:83], v[156:157], s[16:17], v[104:105]
	;; [unrolled: 1-line block ×10, first 2 shown]
	v_mul_f64 v[30:31], v[70:71], s[22:23]
	v_fma_f64 v[78:79], v[78:79], s[6:7], v[82:83]
	v_fma_f64 v[82:83], v[168:169], s[16:17], v[138:139]
	;; [unrolled: 1-line block ×3, first 2 shown]
	v_mul_f64 v[28:29], v[28:29], s[22:23]
	v_fma_f64 v[82:83], v[164:165], s[8:9], v[82:83]
	v_fma_f64 v[70:71], v[70:71], s[12:13], v[28:29]
	v_add_f64 v[28:29], v[65:66], v[72:73]
	v_fma_f64 v[80:81], v[80:81], s[6:7], v[82:83]
	v_mul_f64 v[82:83], v[78:79], s[20:21]
	v_add_f64 v[30:31], v[68:69], v[70:71]
	v_fma_f64 v[82:83], v[80:81], s[14:15], v[82:83]
	v_mul_f64 v[80:81], v[80:81], s[20:21]
	v_add_f64 v[132:133], v[74:75], v[82:83]
	v_fma_f64 v[78:79], v[78:79], s[16:17], v[80:81]
	v_add_f64 v[136:137], v[74:75], -v[82:83]
	v_add_f64 v[74:75], v[140:141], v[144:145]
	v_add_f64 v[80:81], v[150:151], -v[154:155]
	v_add_f64 v[82:83], v[144:145], -v[148:149]
	v_add_f64 v[134:135], v[76:77], v[78:79]
	v_add_f64 v[138:139], v[76:77], -v[78:79]
	v_add_f64 v[76:77], v[142:143], v[146:147]
	v_add_f64 v[78:79], v[148:149], v[152:153]
	;; [unrolled: 1-line block ×4, first 2 shown]
	ds_read_b128 v[148:151], v64 offset:2320
	v_fma_f64 v[78:79], v[78:79], -0.5, v[140:141]
	v_add_f64 v[74:75], v[74:75], v[152:153]
	s_waitcnt lgkmcnt(0)
	s_barrier
	buffer_gl0_inv
	v_add_f64 v[94:95], v[146:147], -v[150:151]
	v_add_f64 v[102:103], v[148:149], -v[152:153]
	;; [unrolled: 1-line block ×4, first 2 shown]
	v_add_f64 v[96:97], v[144:145], v[148:149]
	v_add_f64 v[144:145], v[65:66], -v[72:73]
	v_fma_f64 v[65:66], v[170:171], -0.5, v[43:44]
	v_add_f64 v[100:101], v[146:147], v[150:151]
	v_add_f64 v[74:75], v[74:75], v[148:149]
	v_add_f64 v[104:105], v[152:153], -v[148:149]
	v_add_f64 v[146:147], v[68:69], -v[70:71]
	v_fma_f64 v[68:69], v[188:189], -0.5, v[43:44]
	v_add_f64 v[110:111], v[154:155], -v[150:151]
	v_add_f64 v[76:77], v[76:77], v[154:155]
	v_fma_f64 v[70:71], v[178:179], -0.5, v[45:46]
	v_fma_f64 v[72:73], v[192:193], -0.5, v[45:46]
	v_add_f64 v[82:83], v[82:83], v[102:103]
	v_fma_f64 v[102:103], v[94:95], s[14:15], v[78:79]
	v_fma_f64 v[106:107], v[98:99], s[16:17], v[86:87]
	v_add_f64 v[90:91], v[90:91], v[108:109]
	v_fma_f64 v[96:97], v[96:97], -0.5, v[140:141]
	v_fma_f64 v[100:101], v[100:101], -0.5, v[142:143]
	v_add_f64 v[43:44], v[202:203], v[74:75]
	v_add_f64 v[140:141], v[202:203], -v[74:75]
	v_add_f64 v[74:75], v[174:175], v[194:195]
	v_add_f64 v[84:85], v[84:85], v[104:105]
	;; [unrolled: 1-line block ×4, first 2 shown]
	v_fma_f64 v[112:113], v[190:191], s[16:17], v[70:71]
	v_fma_f64 v[70:71], v[190:191], s[14:15], v[70:71]
	;; [unrolled: 1-line block ×5, first 2 shown]
	v_add_f64 v[45:46], v[204:205], v[76:77]
	v_add_f64 v[142:143], v[204:205], -v[76:77]
	v_add_f64 v[76:77], v[182:183], v[198:199]
	v_fma_f64 v[112:113], v[180:181], s[12:13], v[112:113]
	v_fma_f64 v[70:71], v[180:181], s[8:9], v[70:71]
	v_fma_f64 v[102:103], v[82:83], s[6:7], v[102:103]
	v_fma_f64 v[106:107], v[90:91], s[6:7], v[106:107]
	v_fma_f64 v[104:105], v[98:99], s[12:13], v[104:105]
	v_fma_f64 v[112:113], v[76:77], s[6:7], v[112:113]
	v_fma_f64 v[70:71], v[76:77], s[6:7], v[70:71]
	v_mul_f64 v[108:109], v[102:103], s[18:19]
	v_mul_f64 v[102:103], v[102:103], s[12:13]
	v_fma_f64 v[104:105], v[92:93], s[6:7], v[104:105]
	v_fma_f64 v[108:109], v[106:107], s[8:9], v[108:109]
	;; [unrolled: 1-line block ×5, first 2 shown]
	v_mul_f64 v[110:111], v[104:105], s[14:15]
	v_add_f64 v[150:151], v[112:113], v[102:103]
	v_fma_f64 v[106:107], v[172:173], s[8:9], v[106:107]
	v_add_f64 v[154:155], v[112:113], -v[102:103]
	v_add_f64 v[102:103], v[176:177], v[196:197]
	v_fma_f64 v[112:113], v[180:181], s[14:15], v[72:73]
	v_fma_f64 v[72:73], v[180:181], s[16:17], v[72:73]
	v_fma_f64 v[65:66], v[172:173], s[12:13], v[65:66]
	v_fma_f64 v[106:107], v[74:75], s[6:7], v[106:107]
	v_fma_f64 v[112:113], v[190:191], s[12:13], v[112:113]
	v_fma_f64 v[72:73], v[190:191], s[8:9], v[72:73]
	v_fma_f64 v[65:66], v[74:75], s[6:7], v[65:66]
	v_add_f64 v[148:149], v[106:107], v[108:109]
	v_add_f64 v[152:153], v[106:107], -v[108:109]
	v_fma_f64 v[108:109], v[80:81], s[16:17], v[96:97]
	v_fma_f64 v[96:97], v[80:81], s[14:15], v[96:97]
	v_add_f64 v[106:107], v[184:185], v[200:201]
	v_fma_f64 v[108:109], v[94:95], s[8:9], v[108:109]
	v_fma_f64 v[96:97], v[94:95], s[12:13], v[96:97]
	;; [unrolled: 1-line block ×8, first 2 shown]
	v_mul_f64 v[108:109], v[108:109], s[16:17]
	v_fma_f64 v[96:97], v[98:99], s[8:9], v[96:97]
	v_fma_f64 v[104:105], v[104:105], s[6:7], v[108:109]
	v_fma_f64 v[108:109], v[172:173], s[16:17], v[68:69]
	v_fma_f64 v[68:69], v[172:173], s[14:15], v[68:69]
	v_fma_f64 v[92:93], v[92:93], s[6:7], v[96:97]
	v_mul_f64 v[96:97], v[84:85], s[20:21]
	v_add_f64 v[158:159], v[112:113], v[104:105]
	v_fma_f64 v[108:109], v[186:187], s[8:9], v[108:109]
	v_fma_f64 v[68:69], v[186:187], s[12:13], v[68:69]
	v_add_f64 v[162:163], v[112:113], -v[104:105]
	v_fma_f64 v[96:97], v[92:93], s[14:15], v[96:97]
	v_mul_f64 v[92:93], v[92:93], s[20:21]
	v_fma_f64 v[108:109], v[102:103], s[6:7], v[108:109]
	v_fma_f64 v[68:69], v[102:103], s[6:7], v[68:69]
	;; [unrolled: 1-line block ×3, first 2 shown]
	v_add_f64 v[156:157], v[108:109], v[110:111]
	v_add_f64 v[164:165], v[68:69], v[96:97]
	v_add_f64 v[168:169], v[68:69], -v[96:97]
	v_fma_f64 v[68:69], v[94:95], s[16:17], v[78:79]
	v_add_f64 v[166:167], v[72:73], v[84:85]
	v_add_f64 v[170:171], v[72:73], -v[84:85]
	v_fma_f64 v[72:73], v[98:99], s[14:15], v[86:87]
	v_lshl_add_u32 v79, v42, 4, v67
	ds_write_b128 v79, v[47:50]
	ds_write_b128 v79, v[51:54] offset:16
	ds_write_b128 v79, v[59:62] offset:32
	;; [unrolled: 1-line block ×9, first 2 shown]
	v_add_f64 v[160:161], v[108:109], -v[110:111]
	v_fma_f64 v[68:69], v[80:81], s[12:13], v[68:69]
	v_fma_f64 v[72:73], v[88:89], s[8:9], v[72:73]
	;; [unrolled: 1-line block ×4, first 2 shown]
	v_mul_f64 v[74:75], v[68:69], s[22:23]
	v_fma_f64 v[74:75], v[72:73], s[8:9], v[74:75]
	v_mul_f64 v[72:73], v[72:73], s[22:23]
	v_add_f64 v[172:173], v[65:66], v[74:75]
	v_fma_f64 v[68:69], v[68:69], s[12:13], v[72:73]
	v_add_nc_u32_e32 v73, 5, v206
	v_add_f64 v[176:177], v[65:66], -v[74:75]
	v_add_nc_u32_e32 v74, 10, v206
	v_mul_u32_u24_e32 v8, 10, v73
	v_lshl_add_u32 v78, v8, 4, v67
	ds_write_b128 v78, v[4:7]
	ds_write_b128 v78, v[20:23] offset:16
	ds_write_b128 v78, v[36:39] offset:32
	;; [unrolled: 1-line block ×9, first 2 shown]
	v_mov_b32_e32 v7, v206
	v_mul_u32_u24_e32 v0, 10, v74
	v_add_f64 v[174:175], v[70:71], v[68:69]
	v_add_f64 v[178:179], v[70:71], -v[68:69]
	v_lshl_add_u32 v77, v0, 4, v67
	v_lshlrev_b32_e32 v6, 6, v7
	ds_write_b128 v77, v[43:46]
	ds_write_b128 v77, v[148:151] offset:16
	ds_write_b128 v77, v[156:159] offset:32
	;; [unrolled: 1-line block ×9, first 2 shown]
	s_waitcnt lgkmcnt(0)
	s_barrier
	buffer_gl0_inv
	s_clause 0x3
	global_load_dwordx4 v[184:187], v6, s[10:11]
	global_load_dwordx4 v[150:153], v6, s[10:11] offset:16
	global_load_dwordx4 v[154:157], v6, s[10:11] offset:32
	;; [unrolled: 1-line block ×3, first 2 shown]
	v_lshlrev_b32_e32 v6, 6, v73
	ds_read_b128 v[0:3], v64 offset:480
	v_add_co_u32 v75, null, v7, 20
	v_add_co_u32 v253, null, v7, 25
	s_clause 0x3
	global_load_dwordx4 v[176:179], v6, s[10:11] offset:32
	global_load_dwordx4 v[168:171], v6, s[10:11]
	global_load_dwordx4 v[172:175], v6, s[10:11] offset:16
	global_load_dwordx4 v[180:183], v6, s[10:11] offset:48
	v_mov_b32_e32 v76, v7
	s_waitcnt vmcnt(7) lgkmcnt(0)
	v_mul_f64 v[4:5], v[2:3], v[186:187]
	v_fma_f64 v[12:13], v[0:1], v[184:185], -v[4:5]
	v_mul_f64 v[0:1], v[0:1], v[186:187]
	v_fma_f64 v[14:15], v[2:3], v[184:185], v[0:1]
	ds_read_b128 v[0:3], v64 offset:960
	s_waitcnt vmcnt(6) lgkmcnt(0)
	v_mul_f64 v[4:5], v[2:3], v[152:153]
	v_fma_f64 v[16:17], v[0:1], v[150:151], -v[4:5]
	v_mul_f64 v[0:1], v[0:1], v[152:153]
	v_fma_f64 v[18:19], v[2:3], v[150:151], v[0:1]
	ds_read_b128 v[0:3], v64 offset:1440
	s_waitcnt vmcnt(5) lgkmcnt(0)
	v_mul_f64 v[4:5], v[2:3], v[156:157]
	v_fma_f64 v[20:21], v[0:1], v[154:155], -v[4:5]
	v_mul_f64 v[0:1], v[0:1], v[156:157]
	v_add_f64 v[106:107], v[16:17], -v[20:21]
	v_fma_f64 v[22:23], v[2:3], v[154:155], v[0:1]
	ds_read_b128 v[0:3], v64 offset:1920
	s_waitcnt vmcnt(4) lgkmcnt(0)
	v_mul_f64 v[4:5], v[2:3], v[160:161]
	v_add_f64 v[102:103], v[18:19], -v[22:23]
	v_fma_f64 v[24:25], v[0:1], v[158:159], -v[4:5]
	v_mul_f64 v[0:1], v[0:1], v[160:161]
	v_add_f64 v[104:105], v[12:13], -v[24:25]
	v_fma_f64 v[26:27], v[2:3], v[158:159], v[0:1]
	ds_read_b128 v[0:3], v64 offset:560
	s_waitcnt vmcnt(2) lgkmcnt(0)
	v_mul_f64 v[4:5], v[2:3], v[170:171]
	v_add_f64 v[100:101], v[14:15], -v[26:27]
	v_fma_f64 v[32:33], v[0:1], v[168:169], -v[4:5]
	v_mul_f64 v[0:1], v[0:1], v[170:171]
	v_fma_f64 v[34:35], v[2:3], v[168:169], v[0:1]
	ds_read_b128 v[0:3], v64 offset:1040
	s_waitcnt vmcnt(1) lgkmcnt(0)
	v_mul_f64 v[4:5], v[2:3], v[174:175]
	v_fma_f64 v[36:37], v[0:1], v[172:173], -v[4:5]
	v_mul_f64 v[0:1], v[0:1], v[174:175]
	v_fma_f64 v[38:39], v[2:3], v[172:173], v[0:1]
	ds_read_b128 v[0:3], v64 offset:1520
	s_waitcnt lgkmcnt(0)
	v_mul_f64 v[4:5], v[2:3], v[178:179]
	v_fma_f64 v[68:69], v[0:1], v[176:177], -v[4:5]
	v_mul_f64 v[0:1], v[0:1], v[178:179]
	v_add_f64 v[110:111], v[36:37], -v[68:69]
	v_fma_f64 v[71:72], v[2:3], v[176:177], v[0:1]
	ds_read_b128 v[0:3], v64 offset:2000
	s_waitcnt vmcnt(0) lgkmcnt(0)
	v_mul_f64 v[4:5], v[2:3], v[182:183]
	v_fma_f64 v[80:81], v[0:1], v[180:181], -v[4:5]
	v_mul_f64 v[0:1], v[0:1], v[182:183]
	v_add_f64 v[108:109], v[32:33], -v[80:81]
	v_fma_f64 v[82:83], v[2:3], v[180:181], v[0:1]
	ds_read_b128 v[0:3], v64 offset:640
	s_waitcnt lgkmcnt(0)
	v_mul_f64 v[4:5], v[2:3], v[186:187]
	v_fma_f64 v[84:85], v[0:1], v[184:185], -v[4:5]
	v_mul_f64 v[0:1], v[0:1], v[186:187]
	v_fma_f64 v[86:87], v[2:3], v[184:185], v[0:1]
	ds_read_b128 v[0:3], v64 offset:1120
	s_waitcnt lgkmcnt(0)
	v_mul_f64 v[4:5], v[2:3], v[152:153]
	v_fma_f64 v[88:89], v[0:1], v[150:151], -v[4:5]
	v_mul_f64 v[0:1], v[0:1], v[152:153]
	;; [unrolled: 6-line block ×8, first 2 shown]
	v_fma_f64 v[204:205], v[2:3], v[180:181], v[0:1]
	v_and_b32_e32 v0, 0xff, v75
	v_mul_lo_u16 v0, 0xcd, v0
	v_lshrrev_b16 v0, 11, v0
	v_mul_lo_u16 v0, v0, 10
	v_sub_nc_u16 v70, v75, v0
	v_lshlrev_b16 v0, 2, v70
	v_and_b32_e32 v0, 0xfc, v0
	v_lshlrev_b32_e32 v6, 4, v0
	global_load_dwordx4 v[8:11], v6, s[10:11]
	s_waitcnt vmcnt(0)
	buffer_store_dword v8, off, s[28:31], 0 offset:504 ; 4-byte Folded Spill
	buffer_store_dword v9, off, s[28:31], 0 offset:508 ; 4-byte Folded Spill
	buffer_store_dword v10, off, s[28:31], 0 offset:512 ; 4-byte Folded Spill
	buffer_store_dword v11, off, s[28:31], 0 offset:516 ; 4-byte Folded Spill
	ds_read_b128 v[0:3], v64 offset:800
	s_waitcnt lgkmcnt(0)
	v_mul_f64 v[4:5], v[2:3], v[10:11]
	v_fma_f64 v[62:63], v[0:1], v[8:9], -v[4:5]
	v_mul_f64 v[0:1], v[0:1], v[10:11]
	v_fma_f64 v[58:59], v[2:3], v[8:9], v[0:1]
	global_load_dwordx4 v[8:11], v6, s[10:11] offset:16
	s_waitcnt vmcnt(0)
	buffer_store_dword v8, off, s[28:31], 0 offset:520 ; 4-byte Folded Spill
	buffer_store_dword v9, off, s[28:31], 0 offset:524 ; 4-byte Folded Spill
	buffer_store_dword v10, off, s[28:31], 0 offset:528 ; 4-byte Folded Spill
	buffer_store_dword v11, off, s[28:31], 0 offset:532 ; 4-byte Folded Spill
	ds_read_b128 v[0:3], v64 offset:1280
	s_waitcnt lgkmcnt(0)
	v_mul_f64 v[4:5], v[2:3], v[10:11]
	v_fma_f64 v[164:165], v[0:1], v[8:9], -v[4:5]
	v_mul_f64 v[0:1], v[0:1], v[10:11]
	v_fma_f64 v[60:61], v[2:3], v[8:9], v[0:1]
	global_load_dwordx4 v[8:11], v6, s[10:11] offset:32
	;; [unrolled: 12-line block ×3, first 2 shown]
	s_waitcnt vmcnt(0)
	buffer_store_dword v8, off, s[28:31], 0 offset:552 ; 4-byte Folded Spill
	buffer_store_dword v9, off, s[28:31], 0 offset:556 ; 4-byte Folded Spill
	;; [unrolled: 1-line block ×4, first 2 shown]
	ds_read_b128 v[0:3], v64 offset:2240
	buffer_store_dword v76, off, s[28:31], 0 offset:496 ; 4-byte Folded Spill
	s_waitcnt lgkmcnt(0)
	v_mul_f64 v[4:5], v[2:3], v[10:11]
	v_fma_f64 v[190:191], v[0:1], v[8:9], -v[4:5]
	v_mul_f64 v[0:1], v[0:1], v[10:11]
	v_fma_f64 v[188:189], v[2:3], v[8:9], v[0:1]
	v_and_b32_e32 v0, 0xff, v253
	v_mul_lo_u16 v0, 0xcd, v0
	v_lshrrev_b16 v0, 11, v0
	v_mul_lo_u16 v0, v0, 10
	v_sub_nc_u16 v208, v253, v0
	v_lshlrev_b16 v0, 2, v208
	v_and_b32_e32 v0, 0xfc, v0
	v_lshlrev_b32_e32 v6, 4, v0
	global_load_dwordx4 v[7:10], v6, s[10:11]
	s_waitcnt vmcnt(0)
	buffer_store_dword v7, off, s[28:31], 0 offset:568 ; 4-byte Folded Spill
	buffer_store_dword v8, off, s[28:31], 0 offset:572 ; 4-byte Folded Spill
	buffer_store_dword v9, off, s[28:31], 0 offset:576 ; 4-byte Folded Spill
	buffer_store_dword v10, off, s[28:31], 0 offset:580 ; 4-byte Folded Spill
	ds_read_b128 v[0:3], v64 offset:880
	s_waitcnt lgkmcnt(0)
	v_mul_f64 v[4:5], v[2:3], v[9:10]
	v_fma_f64 v[46:47], v[0:1], v[7:8], -v[4:5]
	v_mul_f64 v[0:1], v[0:1], v[9:10]
	v_fma_f64 v[42:43], v[2:3], v[7:8], v[0:1]
	global_load_dwordx4 v[7:10], v6, s[10:11] offset:16
	s_waitcnt vmcnt(0)
	buffer_store_dword v7, off, s[28:31], 0 offset:584 ; 4-byte Folded Spill
	buffer_store_dword v8, off, s[28:31], 0 offset:588 ; 4-byte Folded Spill
	buffer_store_dword v9, off, s[28:31], 0 offset:592 ; 4-byte Folded Spill
	buffer_store_dword v10, off, s[28:31], 0 offset:596 ; 4-byte Folded Spill
	ds_read_b128 v[0:3], v64 offset:1360
	s_waitcnt lgkmcnt(0)
	v_mul_f64 v[4:5], v[2:3], v[9:10]
	v_fma_f64 v[50:51], v[0:1], v[7:8], -v[4:5]
	v_mul_f64 v[0:1], v[0:1], v[9:10]
	v_fma_f64 v[44:45], v[2:3], v[7:8], v[0:1]
	global_load_dwordx4 v[7:10], v6, s[10:11] offset:32
	;; [unrolled: 12-line block ×3, first 2 shown]
	s_waitcnt vmcnt(0)
	buffer_store_dword v6, off, s[28:31], 0 offset:616 ; 4-byte Folded Spill
	buffer_store_dword v7, off, s[28:31], 0 offset:620 ; 4-byte Folded Spill
	;; [unrolled: 1-line block ×4, first 2 shown]
	ds_read_b128 v[0:3], v64 offset:2320
	ds_read_b128 v[209:212], v64 offset:160
	;; [unrolled: 1-line block ×3, first 2 shown]
	s_waitcnt lgkmcnt(2)
	v_mul_f64 v[4:5], v[2:3], v[8:9]
	v_fma_f64 v[56:57], v[0:1], v[6:7], -v[4:5]
	v_mul_f64 v[0:1], v[0:1], v[8:9]
	v_add_f64 v[4:5], v[26:27], -v[22:23]
	ds_read_b128 v[8:11], v64
	v_fma_f64 v[54:55], v[2:3], v[6:7], v[0:1]
	v_add_f64 v[0:1], v[12:13], -v[16:17]
	v_add_f64 v[2:3], v[24:25], -v[20:21]
	v_add_f64 v[0:1], v[0:1], v[2:3]
	v_add_f64 v[2:3], v[14:15], -v[18:19]
	v_add_f64 v[2:3], v[2:3], v[4:5]
	v_add_f64 v[4:5], v[16:17], v[20:21]
	s_waitcnt lgkmcnt(0)
	v_fma_f64 v[28:29], v[4:5], -0.5, v[8:9]
	v_add_f64 v[4:5], v[18:19], v[22:23]
	v_fma_f64 v[30:31], v[4:5], -0.5, v[10:11]
	v_fma_f64 v[4:5], v[100:101], s[14:15], v[28:29]
	v_fma_f64 v[28:29], v[100:101], s[16:17], v[28:29]
	;; [unrolled: 1-line block ×10, first 2 shown]
	v_add_f64 v[28:29], v[12:13], v[24:25]
	v_fma_f64 v[6:7], v[2:3], s[6:7], v[6:7]
	v_fma_f64 v[2:3], v[2:3], s[6:7], v[30:31]
	v_add_f64 v[30:31], v[14:15], v[26:27]
	v_fma_f64 v[28:29], v[28:29], -0.5, v[8:9]
	v_add_f64 v[8:9], v[8:9], v[12:13]
	v_add_f64 v[12:13], v[16:17], -v[12:13]
	v_fma_f64 v[30:31], v[30:31], -0.5, v[10:11]
	v_add_f64 v[10:11], v[10:11], v[14:15]
	v_add_f64 v[14:15], v[18:19], -v[14:15]
	v_add_f64 v[8:9], v[8:9], v[16:17]
	v_add_f64 v[16:17], v[20:21], -v[24:25]
	;; [unrolled: 2-line block ×3, first 2 shown]
	v_add_f64 v[8:9], v[8:9], v[20:21]
	v_fma_f64 v[20:21], v[102:103], s[16:17], v[28:29]
	v_add_f64 v[12:13], v[12:13], v[16:17]
	v_add_f64 v[10:11], v[10:11], v[22:23]
	v_fma_f64 v[22:23], v[102:103], s[14:15], v[28:29]
	v_add_f64 v[8:9], v[8:9], v[24:25]
	v_fma_f64 v[24:25], v[106:107], s[14:15], v[30:31]
	;; [unrolled: 2-line block ×4, first 2 shown]
	v_fma_f64 v[20:21], v[100:101], s[12:13], v[22:23]
	v_fma_f64 v[18:19], v[104:105], s[12:13], v[24:25]
	v_add_f64 v[24:25], v[82:83], -v[71:72]
	v_fma_f64 v[16:17], v[12:13], s[6:7], v[16:17]
	ds_read_b128 v[28:31], v64 offset:80
	v_add_f64 v[106:107], v[38:39], -v[71:72]
	v_fma_f64 v[22:23], v[104:105], s[8:9], v[26:27]
	v_fma_f64 v[12:13], v[12:13], s[6:7], v[20:21]
	;; [unrolled: 1-line block ×3, first 2 shown]
	v_add_f64 v[20:21], v[32:33], -v[36:37]
	v_add_f64 v[104:105], v[34:35], -v[82:83]
	v_fma_f64 v[14:15], v[14:15], s[6:7], v[22:23]
	v_add_f64 v[22:23], v[80:81], -v[68:69]
	v_add_f64 v[20:21], v[20:21], v[22:23]
	v_add_f64 v[22:23], v[34:35], -v[38:39]
	v_add_f64 v[22:23], v[22:23], v[24:25]
	v_add_f64 v[24:25], v[36:37], v[68:69]
	s_waitcnt lgkmcnt(0)
	v_fma_f64 v[100:101], v[24:25], -0.5, v[28:29]
	v_add_f64 v[24:25], v[38:39], v[71:72]
	v_fma_f64 v[102:103], v[24:25], -0.5, v[30:31]
	v_fma_f64 v[24:25], v[104:105], s[14:15], v[100:101]
	v_fma_f64 v[100:101], v[104:105], s[16:17], v[100:101]
	;; [unrolled: 1-line block ×10, first 2 shown]
	v_add_f64 v[100:101], v[32:33], v[80:81]
	v_fma_f64 v[26:27], v[22:23], s[6:7], v[26:27]
	v_fma_f64 v[22:23], v[22:23], s[6:7], v[102:103]
	v_add_f64 v[102:103], v[34:35], v[82:83]
	v_fma_f64 v[100:101], v[100:101], -0.5, v[28:29]
	v_add_f64 v[28:29], v[28:29], v[32:33]
	v_add_f64 v[32:33], v[36:37], -v[32:33]
	v_fma_f64 v[102:103], v[102:103], -0.5, v[30:31]
	v_add_f64 v[30:31], v[30:31], v[34:35]
	v_add_f64 v[34:35], v[38:39], -v[34:35]
	v_add_f64 v[28:29], v[28:29], v[36:37]
	v_add_f64 v[36:37], v[68:69], -v[80:81]
	;; [unrolled: 2-line block ×3, first 2 shown]
	v_add_f64 v[28:29], v[28:29], v[68:69]
	v_fma_f64 v[68:69], v[106:107], s[16:17], v[100:101]
	v_add_f64 v[32:33], v[32:33], v[36:37]
	v_add_f64 v[30:31], v[30:31], v[71:72]
	v_fma_f64 v[71:72], v[106:107], s[14:15], v[100:101]
	v_add_f64 v[28:29], v[28:29], v[80:81]
	v_fma_f64 v[80:81], v[110:111], s[14:15], v[102:103]
	;; [unrolled: 2-line block ×3, first 2 shown]
	v_add_f64 v[100:101], v[86:87], -v[98:99]
	v_add_f64 v[106:107], v[84:85], -v[96:97]
	v_add_f64 v[30:31], v[30:31], v[82:83]
	v_fma_f64 v[82:83], v[110:111], s[16:17], v[102:103]
	v_fma_f64 v[68:69], v[104:105], s[12:13], v[71:72]
	;; [unrolled: 1-line block ×3, first 2 shown]
	v_add_f64 v[80:81], v[98:99], -v[94:95]
	v_fma_f64 v[36:37], v[32:33], s[6:7], v[36:37]
	v_add_f64 v[102:103], v[90:91], -v[94:95]
	v_fma_f64 v[71:72], v[108:109], s[8:9], v[82:83]
	v_fma_f64 v[32:33], v[32:33], s[6:7], v[68:69]
	;; [unrolled: 1-line block ×3, first 2 shown]
	v_add_f64 v[68:69], v[84:85], -v[88:89]
	v_add_f64 v[82:83], v[90:91], v[94:95]
	v_add_f64 v[108:109], v[88:89], -v[92:93]
	v_fma_f64 v[34:35], v[34:35], s[6:7], v[71:72]
	v_add_f64 v[71:72], v[96:97], -v[92:93]
	v_fma_f64 v[82:83], v[82:83], -0.5, v[211:212]
	v_add_f64 v[68:69], v[68:69], v[71:72]
	v_add_f64 v[71:72], v[86:87], -v[90:91]
	v_fma_f64 v[110:111], v[106:107], s[16:17], v[82:83]
	v_fma_f64 v[82:83], v[106:107], s[14:15], v[82:83]
	v_add_f64 v[71:72], v[71:72], v[80:81]
	v_add_f64 v[80:81], v[88:89], v[92:93]
	v_fma_f64 v[110:111], v[108:109], s[12:13], v[110:111]
	v_fma_f64 v[82:83], v[108:109], s[8:9], v[82:83]
	v_fma_f64 v[80:81], v[80:81], -0.5, v[209:210]
	v_fma_f64 v[215:216], v[71:72], s[6:7], v[110:111]
	v_fma_f64 v[219:220], v[71:72], s[6:7], v[82:83]
	v_add_f64 v[82:83], v[211:212], v[86:87]
	v_add_f64 v[71:72], v[86:87], v[98:99]
	v_fma_f64 v[104:105], v[100:101], s[14:15], v[80:81]
	v_fma_f64 v[80:81], v[100:101], s[16:17], v[80:81]
	v_add_f64 v[82:83], v[82:83], v[90:91]
	v_fma_f64 v[71:72], v[71:72], -0.5, v[211:212]
	v_fma_f64 v[104:105], v[102:103], s[8:9], v[104:105]
	v_fma_f64 v[80:81], v[102:103], s[12:13], v[80:81]
	v_add_f64 v[82:83], v[82:83], v[94:95]
	v_fma_f64 v[213:214], v[68:69], s[6:7], v[104:105]
	v_fma_f64 v[217:218], v[68:69], s[6:7], v[80:81]
	v_add_f64 v[80:81], v[209:210], v[84:85]
	v_add_f64 v[68:69], v[84:85], v[96:97]
	v_add_f64 v[84:85], v[88:89], -v[84:85]
	v_add_f64 v[211:212], v[82:83], v[98:99]
	v_add_f64 v[82:83], v[94:95], -v[98:99]
	v_add_f64 v[94:95], v[200:201], -v[202:203]
	v_add_f64 v[80:81], v[80:81], v[88:89]
	v_fma_f64 v[68:69], v[68:69], -0.5, v[209:210]
	v_add_f64 v[80:81], v[80:81], v[92:93]
	v_fma_f64 v[88:89], v[102:103], s[16:17], v[68:69]
	v_fma_f64 v[68:69], v[102:103], s[14:15], v[68:69]
	v_add_f64 v[92:93], v[92:93], -v[96:97]
	v_add_f64 v[209:210], v[80:81], v[96:97]
	v_add_f64 v[80:81], v[90:91], -v[86:87]
	v_fma_f64 v[86:87], v[108:109], s[14:15], v[71:72]
	v_fma_f64 v[71:72], v[108:109], s[16:17], v[71:72]
	v_add_f64 v[84:85], v[84:85], v[92:93]
	v_fma_f64 v[68:69], v[100:101], s[12:13], v[68:69]
	v_fma_f64 v[88:89], v[100:101], s[8:9], v[88:89]
	v_add_f64 v[90:91], v[196:197], -v[206:207]
	v_add_f64 v[80:81], v[80:81], v[82:83]
	v_fma_f64 v[82:83], v[106:107], s[12:13], v[86:87]
	v_fma_f64 v[71:72], v[106:107], s[8:9], v[71:72]
	v_add_f64 v[86:87], v[194:195], -v[198:199]
	v_fma_f64 v[229:230], v[84:85], s[6:7], v[68:69]
	v_add_f64 v[68:69], v[196:197], -v[200:201]
	v_fma_f64 v[225:226], v[84:85], s[6:7], v[88:89]
	v_add_f64 v[88:89], v[194:195], v[198:199]
	v_fma_f64 v[227:228], v[80:81], s[6:7], v[82:83]
	v_fma_f64 v[231:232], v[80:81], s[6:7], v[71:72]
	v_add_f64 v[71:72], v[206:207], -v[202:203]
	v_add_f64 v[80:81], v[204:205], -v[198:199]
	;; [unrolled: 1-line block ×3, first 2 shown]
	v_fma_f64 v[88:89], v[88:89], -0.5, v[235:236]
	v_add_f64 v[68:69], v[68:69], v[71:72]
	v_add_f64 v[71:72], v[192:193], -v[194:195]
	v_fma_f64 v[92:93], v[90:91], s[16:17], v[88:89]
	v_add_f64 v[71:72], v[71:72], v[80:81]
	v_add_f64 v[80:81], v[200:201], v[202:203]
	v_fma_f64 v[92:93], v[94:95], s[12:13], v[92:93]
	v_fma_f64 v[80:81], v[80:81], -0.5, v[233:234]
	v_fma_f64 v[239:240], v[71:72], s[6:7], v[92:93]
	v_fma_f64 v[84:85], v[82:83], s[14:15], v[80:81]
	;; [unrolled: 1-line block ×8, first 2 shown]
	v_add_f64 v[80:81], v[233:234], v[196:197]
	v_add_f64 v[68:69], v[196:197], v[206:207]
	v_add_f64 v[88:89], v[200:201], -v[196:197]
	v_fma_f64 v[84:85], v[94:95], s[8:9], v[84:85]
	v_add_f64 v[80:81], v[80:81], v[200:201]
	v_fma_f64 v[68:69], v[68:69], -0.5, v[233:234]
	v_fma_f64 v[243:244], v[71:72], s[6:7], v[84:85]
	v_add_f64 v[84:85], v[235:236], v[192:193]
	v_add_f64 v[71:72], v[192:193], v[204:205]
	;; [unrolled: 1-line block ×3, first 2 shown]
	v_fma_f64 v[92:93], v[86:87], s[16:17], v[68:69]
	v_fma_f64 v[68:69], v[86:87], s[14:15], v[68:69]
	v_add_f64 v[86:87], v[202:203], -v[206:207]
	v_add_f64 v[84:85], v[84:85], v[194:195]
	v_fma_f64 v[71:72], v[71:72], -0.5, v[235:236]
	v_add_f64 v[200:201], v[80:81], v[206:207]
	v_add_f64 v[80:81], v[194:195], -v[192:193]
	v_fma_f64 v[68:69], v[82:83], s[12:13], v[68:69]
	v_add_f64 v[86:87], v[88:89], v[86:87]
	v_fma_f64 v[88:89], v[82:83], s[8:9], v[92:93]
	v_add_f64 v[84:85], v[84:85], v[198:199]
	v_fma_f64 v[96:97], v[94:95], s[14:15], v[71:72]
	v_fma_f64 v[71:72], v[94:95], s[16:17], v[71:72]
	v_add_f64 v[94:95], v[164:165], -v[166:167]
	v_fma_f64 v[196:197], v[86:87], s[6:7], v[68:69]
	v_add_f64 v[68:69], v[62:63], -v[164:165]
	;; [unrolled: 2-line block ×3, first 2 shown]
	v_add_f64 v[88:89], v[60:61], v[65:66]
	v_add_f64 v[202:203], v[84:85], v[204:205]
	v_add_f64 v[84:85], v[198:199], -v[204:205]
	v_fma_f64 v[71:72], v[90:91], s[8:9], v[71:72]
	v_fma_f64 v[82:83], v[90:91], s[12:13], v[96:97]
	ds_read_b128 v[204:207], v64 offset:320
	v_add_f64 v[90:91], v[62:63], -v[190:191]
	v_add_f64 v[80:81], v[80:81], v[84:85]
	s_waitcnt lgkmcnt(0)
	v_fma_f64 v[88:89], v[88:89], -0.5, v[206:207]
	v_fma_f64 v[198:199], v[80:81], s[6:7], v[71:72]
	v_add_f64 v[71:72], v[190:191], -v[166:167]
	v_fma_f64 v[194:195], v[80:81], s[6:7], v[82:83]
	v_add_f64 v[80:81], v[188:189], -v[65:66]
	v_add_f64 v[82:83], v[58:59], -v[188:189]
	v_fma_f64 v[92:93], v[90:91], s[16:17], v[88:89]
	v_add_f64 v[68:69], v[68:69], v[71:72]
	v_add_f64 v[71:72], v[58:59], -v[60:61]
	v_fma_f64 v[92:93], v[94:95], s[12:13], v[92:93]
	v_add_f64 v[71:72], v[71:72], v[80:81]
	v_add_f64 v[80:81], v[164:165], v[166:167]
	v_fma_f64 v[235:236], v[71:72], s[6:7], v[92:93]
	v_fma_f64 v[80:81], v[80:81], -0.5, v[204:205]
	v_fma_f64 v[84:85], v[82:83], s[14:15], v[80:81]
	v_fma_f64 v[80:81], v[82:83], s[16:17], v[80:81]
	;; [unrolled: 1-line block ×7, first 2 shown]
	v_add_f64 v[68:69], v[62:63], v[190:191]
	v_add_f64 v[80:81], v[204:205], v[62:63]
	v_add_f64 v[62:63], v[164:165], -v[62:63]
	v_fma_f64 v[84:85], v[94:95], s[8:9], v[84:85]
	v_fma_f64 v[68:69], v[68:69], -0.5, v[204:205]
	v_add_f64 v[80:81], v[80:81], v[164:165]
	v_fma_f64 v[247:248], v[71:72], s[6:7], v[84:85]
	v_add_f64 v[71:72], v[58:59], v[188:189]
	v_add_f64 v[84:85], v[206:207], v[58:59]
	v_fma_f64 v[88:89], v[86:87], s[16:17], v[68:69]
	v_fma_f64 v[68:69], v[86:87], s[14:15], v[68:69]
	v_add_f64 v[80:81], v[80:81], v[166:167]
	v_add_f64 v[86:87], v[166:167], -v[190:191]
	v_add_f64 v[58:59], v[60:61], -v[58:59]
	v_fma_f64 v[71:72], v[71:72], -0.5, v[206:207]
	v_add_f64 v[84:85], v[84:85], v[60:61]
	v_add_f64 v[60:61], v[65:66], -v[188:189]
	v_fma_f64 v[68:69], v[82:83], s[12:13], v[68:69]
	v_add_f64 v[164:165], v[80:81], v[190:191]
	v_add_f64 v[62:63], v[62:63], v[86:87]
	v_fma_f64 v[80:81], v[82:83], s[8:9], v[88:89]
	ds_read_b128 v[204:207], v64 offset:400
	v_add_f64 v[86:87], v[46:47], -v[56:57]
	s_waitcnt lgkmcnt(0)
	s_waitcnt_vscnt null, 0x0
	s_barrier
	buffer_gl0_inv
	ds_write_b128 v64, v[8:11]
	ds_write_b128 v64, v[4:7] offset:160
	ds_write_b128 v64, v[16:19] offset:320
	ds_write_b128 v64, v[12:15] offset:480
	ds_write_b128 v64, v[0:3] offset:640
	ds_write_b128 v64, v[28:31] offset:80
	ds_write_b128 v64, v[24:27] offset:240
	ds_write_b128 v64, v[36:39] offset:400
	ds_write_b128 v64, v[32:35] offset:560
	ds_write_b128 v64, v[20:23] offset:720
	ds_write_b128 v64, v[209:212] offset:800
	ds_write_b128 v64, v[213:216] offset:960
	ds_write_b128 v64, v[225:228] offset:1120
	ds_write_b128 v64, v[229:232] offset:1280
	ds_write_b128 v64, v[217:220] offset:1440
	ds_write_b128 v64, v[200:203] offset:880
	ds_write_b128 v64, v[237:240] offset:1040
	ds_write_b128 v64, v[192:195] offset:1200
	ds_write_b128 v64, v[196:199] offset:1360
	ds_write_b128 v64, v[241:244] offset:1520
	v_and_b32_e32 v0, 0xff, v70
	v_lshlrev_b32_e32 v15, 5, v73
	v_lshl_add_u32 v163, v0, 4, v67
	v_and_b32_e32 v0, 0xff, v208
	v_add_f64 v[84:85], v[84:85], v[65:66]
	v_fma_f64 v[65:66], v[94:95], s[14:15], v[71:72]
	v_fma_f64 v[71:72], v[94:95], s[16:17], v[71:72]
	v_add_f64 v[82:83], v[58:59], v[60:61]
	v_lshl_add_u32 v162, v0, 4, v67
	v_fma_f64 v[58:59], v[62:63], s[6:7], v[80:81]
	v_lshlrev_b32_e32 v0, 5, v76
	v_add_f64 v[166:167], v[84:85], v[188:189]
	v_fma_f64 v[60:61], v[90:91], s[12:13], v[65:66]
	v_fma_f64 v[65:66], v[90:91], s[8:9], v[71:72]
	;; [unrolled: 1-line block ×3, first 2 shown]
	v_add_f64 v[62:63], v[46:47], -v[50:51]
	v_add_f64 v[68:69], v[54:55], -v[48:49]
	;; [unrolled: 1-line block ×3, first 2 shown]
	v_add_f64 v[84:85], v[44:45], v[48:49]
	v_add_f64 v[90:91], v[50:51], -v[52:53]
	v_fma_f64 v[60:61], v[82:83], s[6:7], v[60:61]
	v_fma_f64 v[190:191], v[82:83], s[6:7], v[65:66]
	v_add_f64 v[65:66], v[56:57], -v[52:53]
	v_add_f64 v[82:83], v[44:45], -v[48:49]
	ds_write_b128 v163, v[164:167] offset:1600
	ds_write_b128 v163, v[233:236] offset:1760
	;; [unrolled: 1-line block ×5, first 2 shown]
	v_fma_f64 v[84:85], v[84:85], -0.5, v[206:207]
	v_add_f64 v[62:63], v[62:63], v[65:66]
	v_add_f64 v[65:66], v[42:43], -v[44:45]
	v_fma_f64 v[88:89], v[86:87], s[16:17], v[84:85]
	v_add_f64 v[65:66], v[65:66], v[68:69]
	v_add_f64 v[68:69], v[50:51], v[52:53]
	v_fma_f64 v[88:89], v[90:91], s[12:13], v[88:89]
	v_fma_f64 v[68:69], v[68:69], -0.5, v[204:205]
	v_fma_f64 v[251:252], v[65:66], s[6:7], v[88:89]
	v_fma_f64 v[80:81], v[71:72], s[14:15], v[68:69]
	;; [unrolled: 1-line block ×8, first 2 shown]
	v_add_f64 v[68:69], v[204:205], v[46:47]
	v_add_f64 v[62:63], v[46:47], v[56:57]
	v_add_f64 v[46:47], v[50:51], -v[46:47]
	v_fma_f64 v[80:81], v[90:91], s[8:9], v[80:81]
	v_add_f64 v[68:69], v[68:69], v[50:51]
	v_fma_f64 v[62:63], v[62:63], -0.5, v[204:205]
	v_fma_f64 v[223:224], v[65:66], s[6:7], v[80:81]
	v_add_f64 v[80:81], v[206:207], v[42:43]
	v_add_f64 v[65:66], v[42:43], v[54:55]
	v_fma_f64 v[84:85], v[82:83], s[16:17], v[62:63]
	v_fma_f64 v[62:63], v[82:83], s[14:15], v[62:63]
	v_add_f64 v[68:69], v[68:69], v[52:53]
	v_add_f64 v[82:83], v[52:53], -v[56:57]
	v_add_f64 v[42:43], v[44:45], -v[42:43]
	v_add_f64 v[50:51], v[80:81], v[44:45]
	v_fma_f64 v[65:66], v[65:66], -0.5, v[206:207]
	v_add_f64 v[44:45], v[48:49], -v[54:55]
	v_fma_f64 v[62:63], v[71:72], s[12:13], v[62:63]
	v_add_f64 v[46:47], v[46:47], v[82:83]
	v_add_f64 v[80:81], v[50:51], v[48:49]
	v_fma_f64 v[48:49], v[90:91], s[14:15], v[65:66]
	v_add_f64 v[50:51], v[68:69], v[56:57]
	v_fma_f64 v[56:57], v[71:72], s[8:9], v[84:85]
	;; [unrolled: 2-line block ×4, first 2 shown]
	v_fma_f64 v[42:43], v[46:47], s[6:7], v[56:57]
	v_fma_f64 v[46:47], v[46:47], s[6:7], v[62:63]
	;; [unrolled: 1-line block ×5, first 2 shown]
	ds_write_b128 v162, v[50:53] offset:1600
	ds_write_b128 v162, v[249:252] offset:1760
	;; [unrolled: 1-line block ×5, first 2 shown]
	s_waitcnt lgkmcnt(0)
	s_barrier
	buffer_gl0_inv
	global_load_dwordx4 v[7:10], v0, s[10:11] offset:640
	ds_read_b128 v[1:4], v64 offset:800
	s_waitcnt vmcnt(0) lgkmcnt(0)
	v_mul_f64 v[5:6], v[3:4], v[9:10]
	v_fma_f64 v[5:6], v[1:2], v[7:8], -v[5:6]
	buffer_store_dword v7, off, s[28:31], 0 offset:664 ; 4-byte Folded Spill
	buffer_store_dword v8, off, s[28:31], 0 offset:668 ; 4-byte Folded Spill
	;; [unrolled: 1-line block ×4, first 2 shown]
	s_clause 0x2
	global_load_dwordx4 v[200:203], v0, s[10:11] offset:656
	global_load_dwordx4 v[196:199], v15, s[10:11] offset:640
	;; [unrolled: 1-line block ×3, first 2 shown]
	v_lshlrev_b32_e32 v15, 5, v74
	v_mul_f64 v[1:2], v[1:2], v[9:10]
	v_fma_f64 v[7:8], v[3:4], v[7:8], v[1:2]
	ds_read_b128 v[1:4], v64 offset:1600
	s_waitcnt vmcnt(2) lgkmcnt(0)
	v_mul_f64 v[9:10], v[3:4], v[202:203]
	v_fma_f64 v[9:10], v[1:2], v[200:201], -v[9:10]
	v_mul_f64 v[1:2], v[1:2], v[202:203]
	v_fma_f64 v[11:12], v[3:4], v[200:201], v[1:2]
	ds_read_b128 v[1:4], v64 offset:880
	s_waitcnt vmcnt(0)
	buffer_store_dword v22, off, s[28:31], 0 offset:632 ; 4-byte Folded Spill
	buffer_store_dword v23, off, s[28:31], 0 offset:636 ; 4-byte Folded Spill
	;; [unrolled: 1-line block ×4, first 2 shown]
	s_waitcnt lgkmcnt(0)
	v_mul_f64 v[13:14], v[3:4], v[198:199]
	v_fma_f64 v[16:17], v[1:2], v[196:197], -v[13:14]
	v_mul_f64 v[1:2], v[1:2], v[198:199]
	v_fma_f64 v[18:19], v[3:4], v[196:197], v[1:2]
	ds_read_b128 v[1:4], v64 offset:1680
	s_waitcnt lgkmcnt(0)
	v_mul_f64 v[13:14], v[3:4], v[24:25]
	v_fma_f64 v[20:21], v[1:2], v[22:23], -v[13:14]
	v_mul_f64 v[1:2], v[1:2], v[24:25]
	global_load_dwordx4 v[24:27], v15, s[10:11] offset:640
	v_fma_f64 v[22:23], v[3:4], v[22:23], v[1:2]
	ds_read_b128 v[1:4], v64 offset:960
	s_waitcnt vmcnt(0) lgkmcnt(0)
	v_mul_f64 v[13:14], v[3:4], v[26:27]
	v_fma_f64 v[28:29], v[1:2], v[24:25], -v[13:14]
	buffer_store_dword v24, off, s[28:31], 0 offset:648 ; 4-byte Folded Spill
	buffer_store_dword v25, off, s[28:31], 0 offset:652 ; 4-byte Folded Spill
	;; [unrolled: 1-line block ×4, first 2 shown]
	global_load_dwordx4 v[204:207], v15, s[10:11] offset:656
	v_add_nc_u32_e32 v15, 0x1e0, v0
	ds_read_b128 v[36:39], v64 offset:240
	ds_read_b128 v[50:53], v64 offset:320
	;; [unrolled: 1-line block ×4, first 2 shown]
	s_clause 0x1
	global_load_dwordx4 v[208:211], v15, s[10:11] offset:640
	global_load_dwordx4 v[212:215], v15, s[10:11] offset:656
	v_lshlrev_b32_e32 v15, 5, v75
	s_clause 0x1
	global_load_dwordx4 v[220:223], v15, s[10:11] offset:656
	global_load_dwordx4 v[216:219], v15, s[10:11] offset:640
	v_lshlrev_b32_e32 v15, 5, v253
	s_clause 0x1
	global_load_dwordx4 v[236:239], v15, s[10:11] offset:640
	global_load_dwordx4 v[244:247], v15, s[10:11] offset:656
	v_add_nc_u32_e32 v15, 0x3c0, v0
	s_clause 0x1
	global_load_dwordx4 v[192:195], v15, s[10:11] offset:656
	global_load_dwordx4 v[248:251], v15, s[10:11] offset:640
	v_add_nc_u32_e32 v15, 0x460, v0
	s_clause 0x1
	global_load_dwordx4 v[188:191], v15, s[10:11] offset:640
	global_load_dwordx4 v[240:243], v15, s[10:11] offset:656
	v_lshlrev_b32_e32 v15, 5, v254
	s_clause 0x1
	global_load_dwordx4 v[228:231], v15, s[10:11] offset:656
	global_load_dwordx4 v[252:255], v15, s[10:11] offset:640
	v_mul_f64 v[1:2], v[1:2], v[26:27]
	v_fma_f64 v[30:31], v[3:4], v[24:25], v[1:2]
	ds_read_b128 v[1:4], v64 offset:1760
	v_add_f64 v[24:25], v[7:8], v[11:12]
	s_waitcnt vmcnt(12) lgkmcnt(0)
	v_mul_f64 v[13:14], v[3:4], v[206:207]
	v_fma_f64 v[32:33], v[1:2], v[204:205], -v[13:14]
	v_mul_f64 v[1:2], v[1:2], v[206:207]
	v_fma_f64 v[34:35], v[3:4], v[204:205], v[1:2]
	ds_read_b128 v[1:4], v64 offset:1040
	s_waitcnt vmcnt(11) lgkmcnt(0)
	v_mul_f64 v[13:14], v[3:4], v[210:211]
	v_fma_f64 v[42:43], v[1:2], v[208:209], -v[13:14]
	v_mul_f64 v[1:2], v[1:2], v[210:211]
	v_fma_f64 v[44:45], v[3:4], v[208:209], v[1:2]
	ds_read_b128 v[1:4], v64 offset:1840
	;; [unrolled: 6-line block ×4, first 2 shown]
	s_waitcnt lgkmcnt(0)
	v_mul_f64 v[13:14], v[3:4], v[222:223]
	v_fma_f64 v[71:72], v[1:2], v[220:221], -v[13:14]
	v_mul_f64 v[1:2], v[1:2], v[222:223]
	v_fma_f64 v[80:81], v[3:4], v[220:221], v[1:2]
	ds_read_b128 v[1:4], v64 offset:1200
	s_waitcnt vmcnt(7) lgkmcnt(0)
	v_mul_f64 v[13:14], v[3:4], v[238:239]
	v_fma_f64 v[82:83], v[1:2], v[236:237], -v[13:14]
	v_mul_f64 v[1:2], v[1:2], v[238:239]
	v_fma_f64 v[84:85], v[3:4], v[236:237], v[1:2]
	ds_read_b128 v[1:4], v64 offset:2000
	s_waitcnt vmcnt(6) lgkmcnt(0)
	;; [unrolled: 6-line block ×3, first 2 shown]
	v_mul_f64 v[13:14], v[3:4], v[250:251]
	v_fma_f64 v[92:93], v[1:2], v[248:249], -v[13:14]
	v_mul_f64 v[1:2], v[1:2], v[250:251]
	v_fma_f64 v[94:95], v[3:4], v[248:249], v[1:2]
	ds_read_b128 v[1:4], v64 offset:2080
	s_waitcnt lgkmcnt(0)
	v_mul_f64 v[13:14], v[3:4], v[194:195]
	v_fma_f64 v[96:97], v[1:2], v[192:193], -v[13:14]
	v_mul_f64 v[1:2], v[1:2], v[194:195]
	v_fma_f64 v[98:99], v[3:4], v[192:193], v[1:2]
	ds_read_b128 v[1:4], v64 offset:1360
	s_waitcnt vmcnt(3) lgkmcnt(0)
	v_mul_f64 v[13:14], v[3:4], v[190:191]
	v_fma_f64 v[104:105], v[1:2], v[188:189], -v[13:14]
	v_mul_f64 v[1:2], v[1:2], v[190:191]
	v_fma_f64 v[106:107], v[3:4], v[188:189], v[1:2]
	ds_read_b128 v[1:4], v64 offset:2160
	s_waitcnt vmcnt(2) lgkmcnt(0)
	;; [unrolled: 6-line block ×3, first 2 shown]
	v_mul_f64 v[13:14], v[3:4], v[254:255]
	v_fma_f64 v[116:117], v[1:2], v[252:253], -v[13:14]
	v_mul_f64 v[1:2], v[1:2], v[254:255]
	v_fma_f64 v[118:119], v[3:4], v[252:253], v[1:2]
	ds_read_b128 v[1:4], v64 offset:2240
	s_waitcnt lgkmcnt(0)
	v_mul_f64 v[13:14], v[3:4], v[230:231]
	v_fma_f64 v[128:129], v[1:2], v[228:229], -v[13:14]
	v_mul_f64 v[1:2], v[1:2], v[230:231]
	v_fma_f64 v[130:131], v[3:4], v[228:229], v[1:2]
	v_add_nc_u32_e32 v4, 0x5a0, v0
	ds_read_b128 v[0:3], v64 offset:1520
	s_clause 0x1
	global_load_dwordx4 v[232:235], v4, s[10:11] offset:640
	global_load_dwordx4 v[224:227], v4, s[10:11] offset:656
	s_mov_b32 s11, 0xbfebb67a
	s_mov_b32 s10, s24
	s_waitcnt vmcnt(1) lgkmcnt(0)
	v_mul_f64 v[13:14], v[2:3], v[234:235]
	v_fma_f64 v[132:133], v[0:1], v[232:233], -v[13:14]
	v_mul_f64 v[0:1], v[0:1], v[234:235]
	v_fma_f64 v[134:135], v[2:3], v[232:233], v[0:1]
	ds_read_b128 v[0:3], v64 offset:2320
	s_waitcnt vmcnt(0) lgkmcnt(0)
	v_mul_f64 v[13:14], v[2:3], v[226:227]
	v_fma_f64 v[136:137], v[0:1], v[224:225], -v[13:14]
	v_mul_f64 v[0:1], v[0:1], v[226:227]
	v_add_f64 v[13:14], v[5:6], v[9:10]
	v_fma_f64 v[138:139], v[2:3], v[224:225], v[0:1]
	ds_read_b128 v[0:3], v64
	s_waitcnt lgkmcnt(0)
	v_fma_f64 v[13:14], v[13:14], -0.5, v[0:1]
	v_fma_f64 v[24:25], v[24:25], -0.5, v[2:3]
	v_add_f64 v[2:3], v[2:3], v[7:8]
	v_add_f64 v[0:1], v[0:1], v[5:6]
	v_add_f64 v[7:8], v[7:8], -v[11:12]
	v_add_f64 v[122:123], v[2:3], v[11:12]
	v_add_f64 v[120:121], v[0:1], v[9:10]
	v_add_f64 v[0:1], v[5:6], -v[9:10]
	v_fma_f64 v[73:74], v[7:8], s[24:25], v[13:14]
	v_fma_f64 v[124:125], v[7:8], s[10:11], v[13:14]
	ds_read_b128 v[12:15], v64 offset:80
	v_add_f64 v[2:3], v[18:19], v[22:23]
	v_add_f64 v[8:9], v[18:19], -v[22:23]
	v_fma_f64 v[75:76], v[0:1], s[10:11], v[24:25]
	s_waitcnt lgkmcnt(0)
	v_add_f64 v[4:5], v[14:15], v[18:19]
	v_fma_f64 v[126:127], v[0:1], s[24:25], v[24:25]
	v_add_f64 v[0:1], v[16:17], v[20:21]
	v_fma_f64 v[2:3], v[2:3], -0.5, v[14:15]
	ds_read_b128 v[24:27], v64 offset:160
	v_add_f64 v[6:7], v[12:13], v[16:17]
	v_add_f64 v[56:57], v[4:5], v[22:23]
	v_add_f64 v[4:5], v[16:17], -v[20:21]
	v_fma_f64 v[0:1], v[0:1], -0.5, v[12:13]
	v_add_f64 v[54:55], v[6:7], v[20:21]
	s_waitcnt lgkmcnt(0)
	v_add_f64 v[6:7], v[24:25], v[28:29]
	v_fma_f64 v[60:61], v[4:5], s[10:11], v[2:3]
	v_fma_f64 v[67:68], v[4:5], s[24:25], v[2:3]
	v_add_f64 v[2:3], v[30:31], v[34:35]
	v_add_f64 v[4:5], v[26:27], v[30:31]
	v_fma_f64 v[58:59], v[8:9], s[24:25], v[0:1]
	v_fma_f64 v[65:66], v[8:9], s[10:11], v[0:1]
	v_add_f64 v[0:1], v[28:29], v[32:33]
	v_add_f64 v[8:9], v[30:31], -v[34:35]
	v_fma_f64 v[2:3], v[2:3], -0.5, v[26:27]
	v_add_f64 v[26:27], v[4:5], v[34:35]
	v_add_f64 v[4:5], v[28:29], -v[32:33]
	v_fma_f64 v[0:1], v[0:1], -0.5, v[24:25]
	v_add_f64 v[24:25], v[6:7], v[32:33]
	v_add_f64 v[6:7], v[36:37], v[42:43]
	v_fma_f64 v[30:31], v[4:5], s[10:11], v[2:3]
	v_fma_f64 v[34:35], v[4:5], s[24:25], v[2:3]
	v_add_f64 v[2:3], v[44:45], v[48:49]
	v_add_f64 v[4:5], v[38:39], v[44:45]
	v_fma_f64 v[28:29], v[8:9], s[24:25], v[0:1]
	v_fma_f64 v[32:33], v[8:9], s[10:11], v[0:1]
	v_add_f64 v[0:1], v[42:43], v[46:47]
	v_add_f64 v[8:9], v[44:45], -v[48:49]
	v_fma_f64 v[2:3], v[2:3], -0.5, v[38:39]
	v_add_f64 v[38:39], v[4:5], v[48:49]
	v_add_f64 v[4:5], v[42:43], -v[46:47]
	v_fma_f64 v[0:1], v[0:1], -0.5, v[36:37]
	v_add_f64 v[36:37], v[6:7], v[46:47]
	v_add_f64 v[6:7], v[50:51], v[62:63]
	v_fma_f64 v[44:45], v[4:5], s[10:11], v[2:3]
	v_fma_f64 v[48:49], v[4:5], s[24:25], v[2:3]
	v_add_f64 v[2:3], v[69:70], v[80:81]
	v_add_f64 v[4:5], v[52:53], v[69:70]
	v_fma_f64 v[42:43], v[8:9], s[24:25], v[0:1]
	v_fma_f64 v[46:47], v[8:9], s[10:11], v[0:1]
	v_add_f64 v[0:1], v[62:63], v[71:72]
	v_add_f64 v[8:9], v[69:70], -v[80:81]
	v_fma_f64 v[2:3], v[2:3], -0.5, v[52:53]
	v_add_f64 v[52:53], v[4:5], v[80:81]
	v_add_f64 v[4:5], v[62:63], -v[71:72]
	v_add_f64 v[62:63], v[132:133], -v[136:137]
	v_fma_f64 v[0:1], v[0:1], -0.5, v[50:51]
	v_add_f64 v[50:51], v[6:7], v[71:72]
	v_add_f64 v[6:7], v[84:85], v[88:89]
	v_fma_f64 v[18:19], v[4:5], s[10:11], v[2:3]
	v_fma_f64 v[22:23], v[4:5], s[24:25], v[2:3]
	v_add_f64 v[4:5], v[82:83], v[86:87]
	v_fma_f64 v[16:17], v[8:9], s[24:25], v[0:1]
	v_fma_f64 v[20:21], v[8:9], s[10:11], v[0:1]
	ds_read_b128 v[0:3], v64 offset:400
	v_add_f64 v[8:9], v[84:85], -v[88:89]
	s_waitcnt lgkmcnt(0)
	v_fma_f64 v[4:5], v[4:5], -0.5, v[0:1]
	v_fma_f64 v[6:7], v[6:7], -0.5, v[2:3]
	v_add_f64 v[2:3], v[2:3], v[84:85]
	v_add_f64 v[0:1], v[0:1], v[82:83]
	v_fma_f64 v[80:81], v[8:9], s[24:25], v[4:5]
	v_fma_f64 v[84:85], v[8:9], s[10:11], v[4:5]
	v_add_f64 v[14:15], v[2:3], v[88:89]
	v_add_f64 v[12:13], v[0:1], v[86:87]
	v_add_f64 v[0:1], v[82:83], -v[86:87]
	ds_read_b128 v[88:91], v64 offset:480
	v_add_f64 v[2:3], v[94:95], v[98:99]
	v_add_f64 v[8:9], v[94:95], -v[98:99]
	s_waitcnt lgkmcnt(0)
	v_add_f64 v[4:5], v[90:91], v[94:95]
	v_fma_f64 v[82:83], v[0:1], s[10:11], v[6:7]
	v_fma_f64 v[86:87], v[0:1], s[24:25], v[6:7]
	v_add_f64 v[0:1], v[92:93], v[96:97]
	v_fma_f64 v[2:3], v[2:3], -0.5, v[90:91]
	v_add_f64 v[6:7], v[88:89], v[92:93]
	v_add_f64 v[90:91], v[4:5], v[98:99]
	v_add_f64 v[4:5], v[92:93], -v[96:97]
	v_fma_f64 v[0:1], v[0:1], -0.5, v[88:89]
	v_add_f64 v[88:89], v[6:7], v[96:97]
	v_add_f64 v[6:7], v[100:101], v[104:105]
	v_fma_f64 v[94:95], v[4:5], s[10:11], v[2:3]
	v_fma_f64 v[98:99], v[4:5], s[24:25], v[2:3]
	v_add_f64 v[2:3], v[106:107], v[110:111]
	v_add_f64 v[4:5], v[102:103], v[106:107]
	v_fma_f64 v[92:93], v[8:9], s[24:25], v[0:1]
	v_fma_f64 v[96:97], v[8:9], s[10:11], v[0:1]
	v_add_f64 v[0:1], v[104:105], v[108:109]
	v_add_f64 v[8:9], v[106:107], -v[110:111]
	v_fma_f64 v[2:3], v[2:3], -0.5, v[102:103]
	v_add_f64 v[102:103], v[4:5], v[110:111]
	v_add_f64 v[4:5], v[104:105], -v[108:109]
	v_fma_f64 v[0:1], v[0:1], -0.5, v[100:101]
	v_add_f64 v[100:101], v[6:7], v[108:109]
	v_add_f64 v[6:7], v[112:113], v[116:117]
	v_fma_f64 v[106:107], v[4:5], s[10:11], v[2:3]
	v_fma_f64 v[110:111], v[4:5], s[24:25], v[2:3]
	v_add_f64 v[2:3], v[118:119], v[130:131]
	v_add_f64 v[4:5], v[114:115], v[118:119]
	v_fma_f64 v[104:105], v[8:9], s[24:25], v[0:1]
	v_fma_f64 v[108:109], v[8:9], s[10:11], v[0:1]
	v_add_f64 v[0:1], v[116:117], v[128:129]
	v_add_f64 v[8:9], v[118:119], -v[130:131]
	v_fma_f64 v[2:3], v[2:3], -0.5, v[114:115]
	v_add_f64 v[114:115], v[4:5], v[130:131]
	v_add_f64 v[4:5], v[116:117], -v[128:129]
	v_fma_f64 v[0:1], v[0:1], -0.5, v[112:113]
	v_add_f64 v[112:113], v[6:7], v[128:129]
	v_fma_f64 v[118:119], v[4:5], s[10:11], v[2:3]
	v_fma_f64 v[71:72], v[4:5], s[24:25], v[2:3]
	v_add_f64 v[4:5], v[132:133], v[136:137]
	v_fma_f64 v[116:117], v[8:9], s[24:25], v[0:1]
	v_fma_f64 v[69:70], v[8:9], s[10:11], v[0:1]
	ds_read_b128 v[0:3], v64 offset:720
	v_add_f64 v[8:9], v[134:135], -v[138:139]
	s_waitcnt lgkmcnt(0)
	v_fma_f64 v[6:7], v[4:5], -0.5, v[0:1]
	v_add_f64 v[4:5], v[134:135], v[138:139]
	v_add_f64 v[0:1], v[0:1], v[132:133]
	v_fma_f64 v[10:11], v[4:5], -0.5, v[2:3]
	v_add_f64 v[2:3], v[2:3], v[134:135]
	v_fma_f64 v[4:5], v[8:9], s[24:25], v[6:7]
	v_add_f64 v[0:1], v[0:1], v[136:137]
	v_fma_f64 v[8:9], v[8:9], s[10:11], v[6:7]
	v_fma_f64 v[6:7], v[62:63], s[10:11], v[10:11]
	v_add_f64 v[2:3], v[2:3], v[138:139]
	v_fma_f64 v[10:11], v[62:63], s[24:25], v[10:11]
	ds_write_b128 v64, v[120:123]
	ds_write_b128 v64, v[73:76] offset:800
	ds_write_b128 v64, v[124:127] offset:1600
	;; [unrolled: 1-line block ×29, first 2 shown]
	s_waitcnt lgkmcnt(0)
	s_waitcnt_vscnt null, 0x0
	s_barrier
	buffer_gl0_inv
	global_load_dwordx4 v[2:5], v[40:41], off offset:352
	s_clause 0x1
	buffer_load_dword v56, off, s[28:31], 0 offset:680
	buffer_load_dword v57, off, s[28:31], 0 offset:684
	ds_read_b128 v[6:9], v64
	ds_read_b128 v[69:72], v64 offset:80
	ds_read_b128 v[10:13], v64 offset:240
	ds_read_b128 v[80:83], v64 offset:320
	ds_read_b128 v[16:19], v64 offset:480
	ds_read_b128 v[84:87], v64 offset:560
	ds_read_b128 v[22:25], v64 offset:720
	ds_read_b128 v[90:93], v64 offset:800
	ds_read_b128 v[28:31], v64 offset:960
	ds_read_b128 v[96:99], v64 offset:1040
	ds_read_b128 v[34:37], v64 offset:1200
	ds_read_b128 v[102:105], v64 offset:1280
	ds_read_b128 v[46:49], v64 offset:1680
	ds_read_b128 v[108:111], v64 offset:1520
	ds_read_b128 v[52:55], v64 offset:1920
	ds_read_b128 v[114:117], v64 offset:1760
	ds_read_b128 v[58:61], v64 offset:2160
	ds_read_b128 v[120:123], v64 offset:2000
	s_waitcnt vmcnt(2) lgkmcnt(17)
	v_mul_f64 v[0:1], v[8:9], v[4:5]
	v_mul_f64 v[4:5], v[6:7], v[4:5]
	v_fma_f64 v[166:167], v[8:9], v[2:3], v[4:5]
	s_waitcnt vmcnt(1)
	v_add_co_u32 v4, vcc_lo, 0x960, v56
	s_waitcnt vmcnt(0)
	v_add_co_ci_u32_e32 v5, vcc_lo, 0, v57, vcc_lo
	global_load_dwordx4 v[65:68], v[4:5], off offset:80
	v_fma_f64 v[164:165], v[6:7], v[2:3], -v[0:1]
	global_load_dwordx4 v[6:9], v[4:5], off offset:240
	ds_read_b128 v[40:43], v64 offset:1440
	s_waitcnt vmcnt(0) lgkmcnt(16)
	v_mul_f64 v[2:3], v[10:11], v[8:9]
	v_mul_f64 v[0:1], v[12:13], v[8:9]
	v_add_co_u32 v8, vcc_lo, 0x1000, v56
	v_add_co_ci_u32_e32 v9, vcc_lo, 0, v57, vcc_lo
	v_fma_f64 v[148:149], v[12:13], v[6:7], v[2:3]
	global_load_dwordx4 v[12:15], v[4:5], off offset:480
	v_fma_f64 v[146:147], v[10:11], v[6:7], -v[0:1]
	s_waitcnt vmcnt(0) lgkmcnt(14)
	v_mul_f64 v[2:3], v[16:17], v[14:15]
	v_mul_f64 v[0:1], v[18:19], v[14:15]
	v_fma_f64 v[144:145], v[18:19], v[12:13], v[2:3]
	global_load_dwordx4 v[18:21], v[4:5], off offset:720
	v_fma_f64 v[142:143], v[16:17], v[12:13], -v[0:1]
	s_waitcnt vmcnt(0) lgkmcnt(12)
	v_mul_f64 v[2:3], v[22:23], v[20:21]
	v_mul_f64 v[0:1], v[24:25], v[20:21]
	;; [unrolled: 6-line block ×3, first 2 shown]
	v_fma_f64 v[136:137], v[30:31], v[24:25], v[2:3]
	global_load_dwordx4 v[30:33], v[4:5], off offset:1200
	v_fma_f64 v[134:135], v[28:29], v[24:25], -v[0:1]
	ds_read_b128 v[22:25], v64 offset:1120
	s_waitcnt vmcnt(0) lgkmcnt(9)
	v_mul_f64 v[2:3], v[34:35], v[32:33]
	v_mul_f64 v[0:1], v[36:37], v[32:33]
	v_fma_f64 v[132:133], v[36:37], v[30:31], v[2:3]
	global_load_dwordx4 v[36:39], v[4:5], off offset:1440
	v_fma_f64 v[130:131], v[34:35], v[30:31], -v[0:1]
	s_waitcnt vmcnt(0) lgkmcnt(1)
	v_mul_f64 v[2:3], v[40:41], v[38:39]
	v_mul_f64 v[0:1], v[42:43], v[38:39]
	v_fma_f64 v[128:129], v[42:43], v[36:37], v[2:3]
	global_load_dwordx4 v[42:45], v[4:5], off offset:1680
	v_fma_f64 v[126:127], v[40:41], v[36:37], -v[0:1]
	ds_read_b128 v[34:37], v64 offset:2080
	s_waitcnt vmcnt(0)
	v_mul_f64 v[0:1], v[48:49], v[44:45]
	v_mul_f64 v[2:3], v[46:47], v[44:45]
	v_fma_f64 v[44:45], v[46:47], v[42:43], -v[0:1]
	v_fma_f64 v[46:47], v[48:49], v[42:43], v[2:3]
	global_load_dwordx4 v[48:51], v[4:5], off offset:1920
	s_waitcnt vmcnt(0)
	v_mul_f64 v[0:1], v[54:55], v[50:51]
	v_mul_f64 v[2:3], v[52:53], v[50:51]
	v_fma_f64 v[50:51], v[52:53], v[48:49], -v[0:1]
	v_fma_f64 v[52:53], v[54:55], v[48:49], v[2:3]
	global_load_dwordx4 v[54:57], v[8:9], off offset:464
	s_waitcnt vmcnt(0)
	v_mul_f64 v[0:1], v[60:61], v[56:57]
	v_mul_f64 v[2:3], v[58:59], v[56:57]
	v_fma_f64 v[56:57], v[58:59], v[54:55], -v[0:1]
	v_fma_f64 v[58:59], v[60:61], v[54:55], v[2:3]
	v_mul_f64 v[0:1], v[71:72], v[67:68]
	v_mul_f64 v[2:3], v[69:70], v[67:68]
	ds_read_b128 v[60:63], v64 offset:1360
	v_fma_f64 v[67:68], v[69:70], v[65:66], -v[0:1]
	v_fma_f64 v[69:70], v[71:72], v[65:66], v[2:3]
	global_load_dwordx4 v[71:74], v[4:5], off offset:320
	s_waitcnt vmcnt(0)
	v_mul_f64 v[0:1], v[82:83], v[73:74]
	v_mul_f64 v[2:3], v[80:81], v[73:74]
	v_fma_f64 v[73:74], v[80:81], v[71:72], -v[0:1]
	v_fma_f64 v[75:76], v[82:83], v[71:72], v[2:3]
	global_load_dwordx4 v[80:83], v[4:5], off offset:560
	s_waitcnt vmcnt(0)
	v_mul_f64 v[0:1], v[86:87], v[82:83]
	v_mul_f64 v[2:3], v[84:85], v[82:83]
	;; [unrolled: 6-line block ×8, first 2 shown]
	v_fma_f64 v[118:119], v[120:121], v[116:117], -v[0:1]
	v_fma_f64 v[120:121], v[122:123], v[116:117], v[2:3]
	global_load_dwordx4 v[122:125], v[8:9], off offset:544
	ds_read_b128 v[0:3], v64 offset:2240
	s_waitcnt vmcnt(0) lgkmcnt(0)
	v_mul_f64 v[6:7], v[2:3], v[124:125]
	v_mul_f64 v[10:11], v[0:1], v[124:125]
	v_fma_f64 v[38:39], v[0:1], v[122:123], -v[6:7]
	v_fma_f64 v[40:41], v[2:3], v[122:123], v[10:11]
	global_load_dwordx4 v[122:125], v[4:5], off offset:160
	ds_read_b128 v[0:3], v64 offset:160
	s_waitcnt vmcnt(0) lgkmcnt(0)
	v_mul_f64 v[10:11], v[0:1], v[124:125]
	v_mul_f64 v[6:7], v[2:3], v[124:125]
	v_fma_f64 v[32:33], v[2:3], v[122:123], v[10:11]
	global_load_dwordx4 v[10:13], v[4:5], off offset:400
	v_fma_f64 v[30:31], v[0:1], v[122:123], -v[6:7]
	ds_read_b128 v[122:125], v64 offset:400
	s_waitcnt vmcnt(0) lgkmcnt(0)
	v_mul_f64 v[0:1], v[124:125], v[12:13]
	v_mul_f64 v[2:3], v[122:123], v[12:13]
	v_fma_f64 v[122:123], v[122:123], v[10:11], -v[0:1]
	v_fma_f64 v[124:125], v[124:125], v[10:11], v[2:3]
	global_load_dwordx4 v[10:13], v[4:5], off offset:640
	ds_read_b128 v[0:3], v64 offset:640
	s_waitcnt vmcnt(0) lgkmcnt(0)
	v_mul_f64 v[6:7], v[2:3], v[12:13]
	v_mul_f64 v[12:13], v[0:1], v[12:13]
	v_fma_f64 v[26:27], v[0:1], v[10:11], -v[6:7]
	v_fma_f64 v[28:29], v[2:3], v[10:11], v[12:13]
	global_load_dwordx4 v[10:13], v[4:5], off offset:880
	;; [unrolled: 7-line block ×3, first 2 shown]
	s_waitcnt vmcnt(0)
	v_mul_f64 v[0:1], v[24:25], v[12:13]
	v_mul_f64 v[2:3], v[22:23], v[12:13]
	v_fma_f64 v[22:23], v[22:23], v[10:11], -v[0:1]
	v_fma_f64 v[24:25], v[24:25], v[10:11], v[2:3]
	global_load_dwordx4 v[10:13], v[4:5], off offset:1360
	s_waitcnt vmcnt(0)
	v_mul_f64 v[0:1], v[62:63], v[12:13]
	v_mul_f64 v[2:3], v[60:61], v[12:13]
	v_fma_f64 v[60:61], v[60:61], v[10:11], -v[0:1]
	v_fma_f64 v[62:63], v[62:63], v[10:11], v[2:3]
	global_load_dwordx4 v[10:13], v[4:5], off offset:1600
	ds_read_b128 v[0:3], v64 offset:1600
	s_waitcnt vmcnt(0) lgkmcnt(0)
	v_mul_f64 v[6:7], v[2:3], v[12:13]
	v_mul_f64 v[12:13], v[0:1], v[12:13]
	v_fma_f64 v[14:15], v[0:1], v[10:11], -v[6:7]
	v_fma_f64 v[16:17], v[2:3], v[10:11], v[12:13]
	global_load_dwordx4 v[10:13], v[4:5], off offset:1840
	ds_read_b128 v[0:3], v64 offset:1840
	s_waitcnt vmcnt(0) lgkmcnt(0)
	v_mul_f64 v[4:5], v[2:3], v[12:13]
	v_mul_f64 v[6:7], v[0:1], v[12:13]
	v_fma_f64 v[4:5], v[0:1], v[10:11], -v[4:5]
	v_fma_f64 v[6:7], v[2:3], v[10:11], v[6:7]
	global_load_dwordx4 v[10:13], v[8:9], off offset:384
	s_waitcnt vmcnt(0)
	v_mul_f64 v[0:1], v[36:37], v[12:13]
	v_mul_f64 v[2:3], v[34:35], v[12:13]
	v_fma_f64 v[34:35], v[34:35], v[10:11], -v[0:1]
	v_fma_f64 v[36:37], v[36:37], v[10:11], v[2:3]
	global_load_dwordx4 v[10:13], v[8:9], off offset:624
	ds_read_b128 v[0:3], v64 offset:2320
	s_waitcnt vmcnt(0) lgkmcnt(0)
	v_mul_f64 v[8:9], v[2:3], v[12:13]
	v_mul_f64 v[12:13], v[0:1], v[12:13]
	v_fma_f64 v[0:1], v[0:1], v[10:11], -v[8:9]
	v_fma_f64 v[2:3], v[2:3], v[10:11], v[12:13]
	ds_write_b128 v64, v[164:167]
	ds_write_b128 v64, v[146:149] offset:240
	ds_write_b128 v64, v[142:145] offset:480
	;; [unrolled: 1-line block ×29, first 2 shown]
	s_waitcnt lgkmcnt(0)
	s_barrier
	buffer_gl0_inv
	ds_read_b128 v[0:3], v64 offset:480
	ds_read_b128 v[4:7], v64
	ds_read_b128 v[8:11], v64 offset:960
	s_waitcnt lgkmcnt(1)
	v_add_f64 v[12:13], v[4:5], v[0:1]
	s_waitcnt lgkmcnt(0)
	v_add_f64 v[24:25], v[0:1], -v[8:9]
	v_add_f64 v[26:27], v[8:9], -v[0:1]
	;; [unrolled: 1-line block ×4, first 2 shown]
	v_add_f64 v[16:17], v[12:13], v[8:9]
	v_add_f64 v[12:13], v[6:7], v[2:3]
	;; [unrolled: 1-line block ×3, first 2 shown]
	ds_read_b128 v[12:15], v64 offset:1440
	s_waitcnt lgkmcnt(0)
	v_add_f64 v[20:21], v[8:9], v[12:13]
	v_add_f64 v[22:23], v[10:11], -v[14:15]
	v_add_f64 v[28:29], v[10:11], v[14:15]
	v_add_f64 v[30:31], v[8:9], -v[12:13]
	ds_read_b128 v[8:11], v64 offset:1920
	v_fma_f64 v[20:21], v[20:21], -0.5, v[4:5]
	s_waitcnt lgkmcnt(0)
	v_add_f64 v[36:37], v[2:3], -v[10:11]
	v_add_f64 v[38:39], v[0:1], v[8:9]
	v_add_f64 v[73:74], v[0:1], -v[8:9]
	v_add_f64 v[40:41], v[2:3], v[10:11]
	v_add_f64 v[0:1], v[16:17], v[12:13]
	;; [unrolled: 1-line block ×3, first 2 shown]
	v_add_f64 v[42:43], v[8:9], -v[12:13]
	v_add_f64 v[56:57], v[12:13], -v[8:9]
	;; [unrolled: 1-line block ×4, first 2 shown]
	v_fma_f64 v[28:29], v[28:29], -0.5, v[6:7]
	v_fma_f64 v[4:5], v[38:39], -0.5, v[4:5]
	;; [unrolled: 1-line block ×3, first 2 shown]
	v_add_f64 v[46:47], v[0:1], v[8:9]
	v_add_f64 v[50:51], v[2:3], v[10:11]
	ds_read_b128 v[0:3], v64 offset:720
	ds_read_b128 v[8:11], v64 offset:240
	;; [unrolled: 1-line block ×3, first 2 shown]
	v_add_f64 v[26:27], v[26:27], v[56:57]
	s_waitcnt lgkmcnt(1)
	v_add_f64 v[16:17], v[8:9], v[0:1]
	s_waitcnt lgkmcnt(0)
	v_add_f64 v[60:61], v[0:1], -v[12:13]
	v_add_f64 v[62:63], v[12:13], -v[0:1]
	;; [unrolled: 1-line block ×4, first 2 shown]
	v_add_f64 v[48:49], v[16:17], v[12:13]
	v_add_f64 v[16:17], v[10:11], v[2:3]
	;; [unrolled: 1-line block ×3, first 2 shown]
	ds_read_b128 v[16:19], v64 offset:1680
	s_waitcnt lgkmcnt(0)
	v_add_f64 v[65:66], v[14:15], v[18:19]
	v_add_f64 v[48:49], v[48:49], v[16:17]
	;; [unrolled: 1-line block ×3, first 2 shown]
	v_add_f64 v[75:76], v[14:15], -v[18:19]
	v_add_f64 v[80:81], v[12:13], -v[16:17]
	ds_read_b128 v[12:15], v64 offset:2160
	v_add_f64 v[52:53], v[52:53], v[18:19]
	v_fma_f64 v[38:39], v[65:66], -0.5, v[10:11]
	v_fma_f64 v[88:89], v[54:55], -0.5, v[8:9]
	s_waitcnt lgkmcnt(0)
	v_add_f64 v[71:72], v[0:1], v[12:13]
	v_add_f64 v[0:1], v[0:1], -v[12:13]
	v_add_f64 v[84:85], v[12:13], -v[16:17]
	;; [unrolled: 1-line block ×3, first 2 shown]
	v_add_f64 v[12:13], v[48:49], v[12:13]
	v_add_f64 v[82:83], v[2:3], -v[14:15]
	v_add_f64 v[2:3], v[2:3], v[14:15]
	v_add_f64 v[86:87], v[14:15], -v[18:19]
	v_add_f64 v[18:19], v[18:19], -v[14:15]
	v_add_f64 v[14:15], v[52:53], v[14:15]
	v_fma_f64 v[8:9], v[71:72], -0.5, v[8:9]
	v_add_f64 v[16:17], v[62:63], v[16:17]
	v_add_f64 v[52:53], v[46:47], v[12:13]
	v_add_f64 v[48:49], v[46:47], -v[12:13]
	v_add_f64 v[12:13], v[32:33], v[44:45]
	v_fma_f64 v[32:33], v[0:1], s[14:15], v[38:39]
	v_fma_f64 v[2:3], v[2:3], -0.5, v[10:11]
	v_add_f64 v[10:11], v[24:25], v[42:43]
	v_add_f64 v[24:25], v[67:68], v[86:87]
	v_fma_f64 v[40:41], v[82:83], s[16:17], v[88:89]
	v_add_f64 v[54:55], v[50:51], v[14:15]
	v_add_f64 v[50:51], v[50:51], -v[14:15]
	v_add_f64 v[14:15], v[60:61], v[84:85]
	v_add_f64 v[18:19], v[69:70], v[18:19]
	v_fma_f64 v[56:57], v[75:76], s[14:15], v[8:9]
	v_fma_f64 v[8:9], v[75:76], s[16:17], v[8:9]
	;; [unrolled: 1-line block ×10, first 2 shown]
	v_mul_f64 v[42:43], v[32:33], s[12:13]
	v_fma_f64 v[44:45], v[40:41], s[18:19], v[42:43]
	v_mul_f64 v[40:41], v[40:41], s[8:9]
	v_fma_f64 v[42:43], v[73:74], s[14:15], v[28:29]
	v_fma_f64 v[32:33], v[32:33], s[18:19], v[40:41]
	v_fma_f64 v[40:41], v[36:37], s[16:17], v[20:21]
	v_fma_f64 v[42:43], v[30:31], s[8:9], v[42:43]
	v_fma_f64 v[40:41], v[22:23], s[12:13], v[40:41]
	v_fma_f64 v[60:61], v[12:13], s[6:7], v[42:43]
	v_fma_f64 v[46:47], v[10:11], s[6:7], v[40:41]
	v_add_f64 v[42:43], v[60:61], v[32:33]
	v_add_f64 v[40:41], v[46:47], v[44:45]
	v_add_f64 v[44:45], v[46:47], -v[44:45]
	v_add_f64 v[46:47], v[60:61], -v[32:33]
	v_add_f64 v[32:33], v[34:35], v[58:59]
	v_fma_f64 v[34:35], v[80:81], s[16:17], v[2:3]
	v_fma_f64 v[2:3], v[80:81], s[14:15], v[2:3]
	;; [unrolled: 1-line block ×8, first 2 shown]
	v_mul_f64 v[58:59], v[34:35], s[16:17]
	v_mul_f64 v[34:35], v[34:35], s[6:7]
	;; [unrolled: 1-line block ×4, first 2 shown]
	v_fma_f64 v[0:1], v[24:25], s[6:7], v[0:1]
	v_fma_f64 v[60:61], v[56:57], s[6:7], v[58:59]
	;; [unrolled: 1-line block ×9, first 2 shown]
	v_mul_f64 v[8:9], v[0:1], s[12:13]
	v_mul_f64 v[0:1], v[0:1], s[22:23]
	v_fma_f64 v[58:59], v[73:74], s[8:9], v[58:59]
	v_fma_f64 v[6:7], v[73:74], s[12:13], v[6:7]
	v_fma_f64 v[56:57], v[36:37], s[12:13], v[56:57]
	v_fma_f64 v[4:5], v[36:37], s[8:9], v[4:5]
	v_fma_f64 v[65:66], v[32:33], s[6:7], v[58:59]
	v_fma_f64 v[6:7], v[32:33], s[6:7], v[6:7]
	v_fma_f64 v[62:63], v[26:27], s[6:7], v[56:57]
	v_fma_f64 v[4:5], v[26:27], s[6:7], v[4:5]
	v_add_f64 v[58:59], v[65:66], v[34:35]
	v_add_f64 v[67:68], v[6:7], v[2:3]
	v_add_f64 v[71:72], v[6:7], -v[2:3]
	v_fma_f64 v[6:7], v[82:83], s[14:15], v[88:89]
	v_add_f64 v[56:57], v[62:63], v[60:61]
	v_add_f64 v[60:61], v[62:63], -v[60:61]
	v_add_f64 v[62:63], v[65:66], -v[34:35]
	v_add_f64 v[65:66], v[4:5], v[16:17]
	v_add_f64 v[69:70], v[4:5], -v[16:17]
	v_fma_f64 v[2:3], v[36:37], s[14:15], v[20:21]
	v_fma_f64 v[4:5], v[73:74], s[16:17], v[28:29]
	;; [unrolled: 1-line block ×10, first 2 shown]
	v_add_f64 v[73:74], v[2:3], v[8:9]
	v_add_f64 v[75:76], v[4:5], v[0:1]
	v_add_f64 v[80:81], v[2:3], -v[8:9]
	v_add_f64 v[82:83], v[4:5], -v[0:1]
	ds_read_b128 v[84:87], v64 offset:80
	ds_read_b128 v[88:91], v64 offset:560
	;; [unrolled: 1-line block ×20, first 2 shown]
	s_waitcnt lgkmcnt(0)
	s_barrier
	buffer_gl0_inv
	ds_write_b128 v79, v[52:55]
	ds_write_b128 v79, v[48:51] offset:80
	ds_write_b128 v79, v[40:43] offset:16
	;; [unrolled: 1-line block ×9, first 2 shown]
	v_add_f64 v[40:41], v[84:85], v[88:89]
	v_add_f64 v[42:43], v[86:87], v[90:91]
	v_add_f64 v[44:45], v[92:93], v[96:97]
	v_add_f64 v[75:76], v[92:93], -v[96:97]
	v_add_f64 v[60:61], v[100:101], -v[96:97]
	;; [unrolled: 1-line block ×6, first 2 shown]
	v_add_f64 v[46:47], v[94:95], v[98:99]
	v_add_f64 v[50:51], v[90:91], -v[94:95]
	v_add_f64 v[58:59], v[94:95], -v[90:91]
	;; [unrolled: 1-line block ×3, first 2 shown]
	v_add_f64 v[52:53], v[88:89], v[100:101]
	v_add_f64 v[81:82], v[88:89], -v[100:101]
	v_add_f64 v[54:55], v[90:91], v[102:103]
	v_add_f64 v[65:66], v[102:103], -v[98:99]
	v_add_f64 v[67:68], v[98:99], -v[102:103]
	v_add_f64 v[88:89], v[112:113], v[116:117]
	v_add_f64 v[90:91], v[114:115], -v[118:119]
	v_add_f64 v[126:127], v[122:123], -v[118:119]
	;; [unrolled: 1-line block ×3, first 2 shown]
	v_add_f64 v[40:41], v[40:41], v[92:93]
	v_add_f64 v[42:43], v[42:43], v[94:95]
	v_add_f64 v[92:93], v[108:109], -v[112:113]
	v_add_f64 v[94:95], v[112:113], -v[108:109]
	v_fma_f64 v[128:129], v[44:45], -0.5, v[84:85]
	v_fma_f64 v[130:131], v[46:47], -0.5, v[86:87]
	;; [unrolled: 1-line block ×4, first 2 shown]
	v_add_f64 v[67:68], v[58:59], v[67:68]
	v_fma_f64 v[87:88], v[88:89], -0.5, v[104:105]
	v_add_f64 v[40:41], v[40:41], v[96:97]
	v_add_f64 v[42:43], v[42:43], v[98:99]
	;; [unrolled: 1-line block ×3, first 2 shown]
	v_add_f64 v[98:99], v[112:113], -v[116:117]
	v_add_f64 v[92:93], v[92:93], v[124:125]
	v_add_f64 v[69:70], v[40:41], v[100:101]
	;; [unrolled: 1-line block ×5, first 2 shown]
	v_add_f64 v[100:101], v[110:111], -v[114:115]
	v_add_f64 v[102:103], v[114:115], -v[110:111]
	v_fma_f64 v[96:97], v[96:97], -0.5, v[106:107]
	v_add_f64 v[40:41], v[40:41], v[112:113]
	v_add_f64 v[42:43], v[42:43], v[114:115]
	v_add_f64 v[112:113], v[110:111], -v[122:123]
	v_add_f64 v[114:115], v[108:109], v[120:121]
	v_add_f64 v[108:109], v[108:109], -v[120:121]
	v_add_f64 v[110:111], v[110:111], v[122:123]
	v_add_f64 v[100:101], v[100:101], v[126:127]
	;; [unrolled: 1-line block ×4, first 2 shown]
	v_add_f64 v[118:119], v[118:119], -v[122:123]
	v_fma_f64 v[104:105], v[114:115], -0.5, v[104:105]
	v_add_f64 v[114:115], v[50:51], v[65:66]
	v_fma_f64 v[106:107], v[110:111], -0.5, v[106:107]
	v_add_f64 v[110:111], v[48:49], v[60:61]
	v_fma_f64 v[48:49], v[108:109], s[14:15], v[96:97]
	v_fma_f64 v[50:51], v[112:113], s[16:17], v[87:88]
	v_add_f64 v[116:117], v[116:117], -v[120:121]
	v_add_f64 v[120:121], v[40:41], v[120:121]
	v_add_f64 v[122:123], v[42:43], v[122:123]
	v_fma_f64 v[58:59], v[90:91], s[14:15], v[104:105]
	v_fma_f64 v[48:49], v[98:99], s[8:9], v[48:49]
	;; [unrolled: 1-line block ×3, first 2 shown]
	v_add_f64 v[40:41], v[69:70], v[120:121]
	v_add_f64 v[42:43], v[71:72], v[122:123]
	v_add_f64 v[46:47], v[71:72], -v[122:123]
	v_add_f64 v[71:72], v[102:103], v[118:119]
	v_add_f64 v[44:45], v[69:70], -v[120:121]
	v_add_f64 v[69:70], v[94:95], v[116:117]
	v_fma_f64 v[58:59], v[112:113], s[12:13], v[58:59]
	v_fma_f64 v[48:49], v[100:101], s[6:7], v[48:49]
	;; [unrolled: 1-line block ×4, first 2 shown]
	v_mul_f64 v[52:53], v[48:49], s[12:13]
	v_fma_f64 v[52:53], v[50:51], s[18:19], v[52:53]
	v_mul_f64 v[50:51], v[50:51], s[8:9]
	v_fma_f64 v[54:55], v[48:49], s[18:19], v[50:51]
	v_fma_f64 v[50:51], v[81:82], s[14:15], v[130:131]
	;; [unrolled: 1-line block ×7, first 2 shown]
	v_add_f64 v[50:51], v[65:66], v[54:55]
	v_add_f64 v[54:55], v[65:66], -v[54:55]
	v_add_f64 v[65:66], v[56:57], v[62:63]
	v_fma_f64 v[56:57], v[98:99], s[16:17], v[106:107]
	v_add_f64 v[48:49], v[60:61], v[52:53]
	v_add_f64 v[52:53], v[60:61], -v[52:53]
	v_fma_f64 v[56:57], v[108:109], s[8:9], v[56:57]
	v_fma_f64 v[56:57], v[71:72], s[6:7], v[56:57]
	v_mul_f64 v[60:61], v[56:57], s[16:17]
	v_mul_f64 v[56:57], v[56:57], s[6:7]
	v_fma_f64 v[60:61], v[58:59], s[6:7], v[60:61]
	v_fma_f64 v[62:63], v[58:59], s[14:15], v[56:57]
	;; [unrolled: 1-line block ×14, first 2 shown]
	v_add_f64 v[56:57], v[94:95], v[60:61]
	v_add_f64 v[60:61], v[94:95], -v[60:61]
	v_fma_f64 v[65:66], v[81:82], s[12:13], v[65:66]
	v_fma_f64 v[81:82], v[81:82], s[16:17], v[130:131]
	v_add_f64 v[58:59], v[102:103], v[62:63]
	v_add_f64 v[62:63], v[102:103], -v[62:63]
	v_fma_f64 v[85:86], v[67:68], s[6:7], v[65:66]
	v_fma_f64 v[65:66], v[98:99], s[14:15], v[106:107]
	;; [unrolled: 1-line block ×8, first 2 shown]
	v_mul_f64 v[69:70], v[65:66], s[16:17]
	v_mul_f64 v[65:66], v[65:66], s[20:21]
	v_fma_f64 v[69:70], v[67:68], s[20:21], v[69:70]
	v_fma_f64 v[71:72], v[67:68], s[14:15], v[65:66]
	v_add_f64 v[65:66], v[83:84], v[69:70]
	v_add_f64 v[69:70], v[83:84], -v[69:70]
	v_fma_f64 v[83:84], v[108:109], s[16:17], v[96:97]
	v_add_f64 v[67:68], v[85:86], v[71:72]
	v_add_f64 v[71:72], v[85:86], -v[71:72]
	v_fma_f64 v[85:86], v[112:113], s[14:15], v[87:88]
	v_fma_f64 v[83:84], v[98:99], s[12:13], v[83:84]
	;; [unrolled: 1-line block ×7, first 2 shown]
	v_mul_f64 v[75:76], v[81:82], s[12:13]
	v_mul_f64 v[79:80], v[81:82], s[22:23]
	v_fma_f64 v[81:82], v[73:74], s[22:23], v[75:76]
	v_fma_f64 v[87:88], v[73:74], s[8:9], v[79:80]
	v_add_f64 v[73:74], v[83:84], v[81:82]
	v_add_f64 v[75:76], v[85:86], v[87:88]
	v_add_f64 v[79:80], v[83:84], -v[81:82]
	v_add_f64 v[81:82], v[85:86], -v[87:88]
	ds_write_b128 v78, v[40:43]
	ds_write_b128 v78, v[48:51] offset:16
	ds_write_b128 v78, v[56:59] offset:32
	;; [unrolled: 1-line block ×9, first 2 shown]
	v_add_f64 v[40:41], v[36:37], v[4:5]
	v_add_f64 v[42:43], v[38:39], v[6:7]
	;; [unrolled: 1-line block ×3, first 2 shown]
	v_add_f64 v[48:49], v[4:5], -v[0:1]
	v_add_f64 v[50:51], v[0:1], -v[4:5]
	;; [unrolled: 1-line block ×5, first 2 shown]
	v_add_f64 v[52:53], v[2:3], v[10:11]
	v_add_f64 v[56:57], v[6:7], -v[2:3]
	v_add_f64 v[58:59], v[2:3], -v[6:7]
	;; [unrolled: 1-line block ×4, first 2 shown]
	v_add_f64 v[73:74], v[18:19], v[26:27]
	v_add_f64 v[67:68], v[18:19], -v[26:27]
	v_add_f64 v[69:70], v[20:21], -v[16:17]
	v_add_f64 v[71:72], v[16:17], -v[20:21]
	v_add_f64 v[75:76], v[16:17], -v[24:25]
	v_add_f64 v[78:79], v[22:23], -v[30:31]
	v_add_f64 v[80:81], v[20:21], v[28:29]
	v_add_f64 v[82:83], v[20:21], -v[28:29]
	v_add_f64 v[84:85], v[30:31], -v[26:27]
	v_add_f64 v[40:41], v[40:41], v[0:1]
	v_add_f64 v[42:43], v[42:43], v[2:3]
	;; [unrolled: 1-line block ×4, first 2 shown]
	v_fma_f64 v[44:45], v[44:45], -0.5, v[36:37]
	v_add_f64 v[4:5], v[40:41], v[8:9]
	v_add_f64 v[6:7], v[42:43], v[10:11]
	v_add_f64 v[40:41], v[12:13], -v[8:9]
	v_add_f64 v[42:43], v[8:9], -v[12:13]
	;; [unrolled: 1-line block ×3, first 2 shown]
	v_add_f64 v[10:11], v[32:33], v[20:21]
	v_add_f64 v[20:21], v[22:23], v[30:31]
	v_add_f64 v[4:5], v[4:5], v[12:13]
	v_add_f64 v[12:13], v[34:35], v[22:23]
	v_add_f64 v[6:7], v[6:7], v[14:15]
	v_add_f64 v[14:15], v[16:17], v[24:25]
	v_add_f64 v[40:41], v[48:49], v[40:41]
	v_add_f64 v[10:11], v[10:11], v[16:17]
	v_add_f64 v[16:17], v[22:23], -v[18:19]
	v_add_f64 v[48:49], v[56:57], v[8:9]
	v_add_f64 v[42:43], v[50:51], v[42:43]
	;; [unrolled: 1-line block ×4, first 2 shown]
	v_add_f64 v[18:19], v[18:19], -v[22:23]
	v_add_f64 v[22:23], v[28:29], -v[24:25]
	v_add_f64 v[10:11], v[10:11], v[24:25]
	v_add_f64 v[24:25], v[24:25], -v[28:29]
	v_add_f64 v[12:13], v[12:13], v[26:27]
	;; [unrolled: 2-line block ×3, first 2 shown]
	v_add_f64 v[69:70], v[16:17], v[84:85]
	v_add_f64 v[10:11], v[10:11], v[28:29]
	v_fma_f64 v[28:29], v[0:1], -0.5, v[36:37]
	v_fma_f64 v[36:37], v[52:53], -0.5, v[38:39]
	;; [unrolled: 1-line block ×4, first 2 shown]
	v_add_f64 v[24:25], v[71:72], v[24:25]
	v_add_f64 v[12:13], v[12:13], v[30:31]
	v_fma_f64 v[30:31], v[2:3], -0.5, v[38:39]
	v_fma_f64 v[38:39], v[73:74], -0.5, v[34:35]
	v_fma_f64 v[34:35], v[20:21], -0.5, v[34:35]
	v_add_f64 v[0:1], v[4:5], v[10:11]
	v_add_f64 v[4:5], v[4:5], -v[10:11]
	v_add_f64 v[26:27], v[18:19], v[26:27]
	v_fma_f64 v[10:11], v[78:79], s[16:17], v[52:53]
	v_fma_f64 v[18:19], v[67:68], s[14:15], v[32:33]
	;; [unrolled: 1-line block ×3, first 2 shown]
	v_add_f64 v[2:3], v[6:7], v[12:13]
	v_add_f64 v[6:7], v[6:7], -v[12:13]
	v_fma_f64 v[8:9], v[82:83], s[14:15], v[38:39]
	v_fma_f64 v[10:11], v[67:68], s[12:13], v[10:11]
	;; [unrolled: 1-line block ×9, first 2 shown]
	v_mul_f64 v[12:13], v[8:9], s[12:13]
	v_fma_f64 v[12:13], v[10:11], s[18:19], v[12:13]
	v_mul_f64 v[10:11], v[10:11], s[8:9]
	v_fma_f64 v[14:15], v[8:9], s[18:19], v[10:11]
	v_fma_f64 v[8:9], v[60:61], s[16:17], v[44:45]
	;; [unrolled: 1-line block ×9, first 2 shown]
	v_add_f64 v[8:9], v[16:17], v[12:13]
	v_add_f64 v[12:13], v[16:17], -v[12:13]
	v_fma_f64 v[16:17], v[75:76], s[16:17], v[34:35]
	v_fma_f64 v[34:35], v[75:76], s[14:15], v[34:35]
	v_add_f64 v[10:11], v[20:21], v[14:15]
	v_add_f64 v[14:15], v[20:21], -v[14:15]
	v_fma_f64 v[16:17], v[82:83], s[8:9], v[16:17]
	v_fma_f64 v[34:35], v[82:83], s[12:13], v[34:35]
	;; [unrolled: 1-line block ×4, first 2 shown]
	v_mul_f64 v[20:21], v[16:17], s[16:17]
	v_mul_f64 v[16:17], v[16:17], s[6:7]
	v_mul_f64 v[32:33], v[26:27], s[16:17]
	v_mul_f64 v[26:27], v[26:27], s[20:21]
	v_fma_f64 v[20:21], v[18:19], s[6:7], v[20:21]
	v_fma_f64 v[22:23], v[18:19], s[14:15], v[16:17]
	;; [unrolled: 1-line block ×17, first 2 shown]
	v_add_f64 v[16:17], v[58:59], v[20:21]
	v_add_f64 v[24:25], v[28:29], v[32:33]
	v_add_f64 v[28:29], v[28:29], -v[32:33]
	v_fma_f64 v[32:33], v[82:83], s[16:17], v[38:39]
	v_add_f64 v[26:27], v[30:31], v[34:35]
	v_add_f64 v[30:31], v[30:31], -v[34:35]
	v_fma_f64 v[34:35], v[60:61], s[14:15], v[44:45]
	v_fma_f64 v[38:39], v[78:79], s[14:15], v[52:53]
	v_add_f64 v[18:19], v[65:66], v[22:23]
	v_add_f64 v[20:21], v[58:59], -v[20:21]
	v_add_f64 v[22:23], v[65:66], -v[22:23]
	v_fma_f64 v[32:33], v[75:76], s[12:13], v[32:33]
	v_fma_f64 v[34:35], v[46:47], s[8:9], v[34:35]
	;; [unrolled: 1-line block ×6, first 2 shown]
	v_mul_f64 v[36:37], v[32:33], s[12:13]
	v_mul_f64 v[32:33], v[32:33], s[22:23]
	v_fma_f64 v[36:37], v[34:35], s[22:23], v[36:37]
	v_fma_f64 v[38:39], v[34:35], s[8:9], v[32:33]
	v_add_f64 v[32:33], v[40:41], v[36:37]
	v_add_f64 v[34:35], v[42:43], v[38:39]
	v_add_f64 v[36:37], v[40:41], -v[36:37]
	v_add_f64 v[38:39], v[42:43], -v[38:39]
	ds_write_b128 v77, v[0:3]
	ds_write_b128 v77, v[8:11] offset:16
	ds_write_b128 v77, v[16:19] offset:32
	;; [unrolled: 1-line block ×9, first 2 shown]
	s_waitcnt lgkmcnt(0)
	s_barrier
	buffer_gl0_inv
	ds_read_b128 v[0:3], v64 offset:480
	s_waitcnt lgkmcnt(0)
	v_mul_f64 v[4:5], v[186:187], v[2:3]
	v_fma_f64 v[12:13], v[184:185], v[0:1], v[4:5]
	v_mul_f64 v[0:1], v[186:187], v[0:1]
	v_fma_f64 v[14:15], v[184:185], v[2:3], -v[0:1]
	ds_read_b128 v[0:3], v64 offset:640
	s_waitcnt lgkmcnt(0)
	v_mul_f64 v[4:5], v[186:187], v[2:3]
	v_fma_f64 v[71:72], v[184:185], v[0:1], v[4:5]
	v_mul_f64 v[0:1], v[186:187], v[0:1]
	v_fma_f64 v[73:74], v[184:185], v[2:3], -v[0:1]
	;; [unrolled: 6-line block ×4, first 2 shown]
	ds_read_b128 v[0:3], v64 offset:1440
	s_waitcnt lgkmcnt(0)
	v_mul_f64 v[4:5], v[156:157], v[2:3]
	v_fma_f64 v[20:21], v[154:155], v[0:1], v[4:5]
	v_mul_f64 v[0:1], v[156:157], v[0:1]
	v_add_f64 v[89:90], v[16:17], -v[20:21]
	v_fma_f64 v[22:23], v[154:155], v[2:3], -v[0:1]
	ds_read_b128 v[0:3], v64 offset:1600
	s_waitcnt lgkmcnt(0)
	v_mul_f64 v[4:5], v[156:157], v[2:3]
	v_add_f64 v[67:68], v[18:19], -v[22:23]
	v_fma_f64 v[79:80], v[154:155], v[0:1], v[4:5]
	v_mul_f64 v[0:1], v[156:157], v[0:1]
	v_add_f64 v[107:108], v[75:76], -v[79:80]
	v_fma_f64 v[81:82], v[154:155], v[2:3], -v[0:1]
	ds_read_b128 v[0:3], v64 offset:1920
	s_waitcnt lgkmcnt(0)
	v_mul_f64 v[4:5], v[160:161], v[2:3]
	v_fma_f64 v[24:25], v[158:159], v[0:1], v[4:5]
	v_mul_f64 v[0:1], v[160:161], v[0:1]
	v_add_f64 v[87:88], v[12:13], -v[24:25]
	v_fma_f64 v[26:27], v[158:159], v[2:3], -v[0:1]
	ds_read_b128 v[0:3], v64 offset:2080
	s_waitcnt lgkmcnt(0)
	v_mul_f64 v[4:5], v[160:161], v[2:3]
	v_add_f64 v[30:31], v[14:15], -v[26:27]
	v_fma_f64 v[83:84], v[158:159], v[0:1], v[4:5]
	v_mul_f64 v[0:1], v[160:161], v[0:1]
	v_add_f64 v[105:106], v[71:72], -v[83:84]
	v_fma_f64 v[85:86], v[158:159], v[2:3], -v[0:1]
	ds_read_b128 v[0:3], v64 offset:560
	s_waitcnt lgkmcnt(0)
	v_mul_f64 v[4:5], v[170:171], v[2:3]
	v_fma_f64 v[32:33], v[168:169], v[0:1], v[4:5]
	v_mul_f64 v[0:1], v[170:171], v[0:1]
	v_fma_f64 v[34:35], v[168:169], v[2:3], -v[0:1]
	ds_read_b128 v[0:3], v64 offset:720
	s_waitcnt lgkmcnt(0)
	v_mul_f64 v[4:5], v[170:171], v[2:3]
	v_fma_f64 v[140:141], v[168:169], v[0:1], v[4:5]
	v_mul_f64 v[0:1], v[170:171], v[0:1]
	;; [unrolled: 6-line block ×5, first 2 shown]
	v_add_f64 v[103:104], v[36:37], -v[56:57]
	v_fma_f64 v[58:59], v[176:177], v[2:3], -v[0:1]
	ds_read_b128 v[0:3], v64 offset:1680
	s_waitcnt lgkmcnt(0)
	v_mul_f64 v[4:5], v[178:179], v[2:3]
	v_fma_f64 v[93:94], v[176:177], v[0:1], v[4:5]
	v_mul_f64 v[0:1], v[178:179], v[0:1]
	v_add_f64 v[111:112], v[91:92], -v[93:94]
	v_fma_f64 v[95:96], v[176:177], v[2:3], -v[0:1]
	ds_read_b128 v[0:3], v64 offset:2000
	s_waitcnt lgkmcnt(0)
	v_mul_f64 v[4:5], v[182:183], v[2:3]
	v_fma_f64 v[60:61], v[180:181], v[0:1], v[4:5]
	v_mul_f64 v[0:1], v[182:183], v[0:1]
	;; [unrolled: 7-line block ×3, first 2 shown]
	v_add_f64 v[109:110], v[140:141], -v[97:98]
	v_fma_f64 v[99:100], v[180:181], v[2:3], -v[0:1]
	ds_read_b128 v[0:3], v64 offset:800
	s_clause 0x3
	buffer_load_dword v6, off, s[28:31], 0 offset:504
	buffer_load_dword v7, off, s[28:31], 0 offset:508
	buffer_load_dword v8, off, s[28:31], 0 offset:512
	buffer_load_dword v9, off, s[28:31], 0 offset:516
	s_waitcnt vmcnt(0) lgkmcnt(0)
	v_mul_f64 v[4:5], v[8:9], v[2:3]
	v_fma_f64 v[122:123], v[6:7], v[0:1], v[4:5]
	v_mul_f64 v[0:1], v[8:9], v[0:1]
	v_fma_f64 v[65:66], v[6:7], v[2:3], -v[0:1]
	ds_read_b128 v[0:3], v64 offset:1280
	s_clause 0x3
	buffer_load_dword v6, off, s[28:31], 0 offset:520
	buffer_load_dword v7, off, s[28:31], 0 offset:524
	buffer_load_dword v8, off, s[28:31], 0 offset:528
	buffer_load_dword v9, off, s[28:31], 0 offset:532
	s_waitcnt vmcnt(0) lgkmcnt(0)
	v_mul_f64 v[4:5], v[8:9], v[2:3]
	v_fma_f64 v[126:127], v[6:7], v[0:1], v[4:5]
	v_mul_f64 v[0:1], v[8:9], v[0:1]
	;; [unrolled: 11-line block ×3, first 2 shown]
	v_fma_f64 v[124:125], v[6:7], v[2:3], -v[0:1]
	ds_read_b128 v[0:3], v64 offset:2240
	s_clause 0x3
	buffer_load_dword v6, off, s[28:31], 0 offset:552
	buffer_load_dword v7, off, s[28:31], 0 offset:556
	buffer_load_dword v8, off, s[28:31], 0 offset:560
	buffer_load_dword v9, off, s[28:31], 0 offset:564
	v_add_f64 v[115:116], v[120:121], -v[124:125]
	s_waitcnt vmcnt(0) lgkmcnt(0)
	v_mul_f64 v[4:5], v[8:9], v[2:3]
	v_fma_f64 v[132:133], v[6:7], v[0:1], v[4:5]
	v_mul_f64 v[0:1], v[8:9], v[0:1]
	v_fma_f64 v[130:131], v[6:7], v[2:3], -v[0:1]
	ds_read_b128 v[0:3], v64 offset:880
	s_clause 0x3
	buffer_load_dword v6, off, s[28:31], 0 offset:568
	buffer_load_dword v7, off, s[28:31], 0 offset:572
	buffer_load_dword v8, off, s[28:31], 0 offset:576
	buffer_load_dword v9, off, s[28:31], 0 offset:580
	s_waitcnt vmcnt(0) lgkmcnt(0)
	v_mul_f64 v[4:5], v[8:9], v[2:3]
	v_fma_f64 v[42:43], v[6:7], v[0:1], v[4:5]
	v_mul_f64 v[0:1], v[8:9], v[0:1]
	v_fma_f64 v[40:41], v[6:7], v[2:3], -v[0:1]
	ds_read_b128 v[0:3], v64 offset:1360
	s_clause 0x3
	buffer_load_dword v6, off, s[28:31], 0 offset:584
	buffer_load_dword v7, off, s[28:31], 0 offset:588
	buffer_load_dword v8, off, s[28:31], 0 offset:592
	buffer_load_dword v9, off, s[28:31], 0 offset:596
	;; [unrolled: 11-line block ×4, first 2 shown]
	s_waitcnt vmcnt(0) lgkmcnt(0)
	v_mul_f64 v[4:5], v[8:9], v[2:3]
	v_fma_f64 v[52:53], v[6:7], v[0:1], v[4:5]
	v_mul_f64 v[0:1], v[8:9], v[0:1]
	v_add_f64 v[4:5], v[26:27], -v[22:23]
	ds_read_b128 v[8:11], v64
	v_fma_f64 v[54:55], v[6:7], v[2:3], -v[0:1]
	v_add_f64 v[0:1], v[12:13], -v[16:17]
	v_add_f64 v[2:3], v[24:25], -v[20:21]
	v_add_f64 v[6:7], v[18:19], v[22:23]
	v_add_f64 v[0:1], v[0:1], v[2:3]
	v_add_f64 v[2:3], v[14:15], -v[18:19]
	s_waitcnt lgkmcnt(0)
	v_fma_f64 v[69:70], v[6:7], -0.5, v[10:11]
	v_add_f64 v[2:3], v[2:3], v[4:5]
	v_add_f64 v[4:5], v[16:17], v[20:21]
	v_fma_f64 v[6:7], v[87:88], s[14:15], v[69:70]
	v_fma_f64 v[69:70], v[87:88], s[16:17], v[69:70]
	v_fma_f64 v[28:29], v[4:5], -0.5, v[8:9]
	v_fma_f64 v[6:7], v[89:90], s[8:9], v[6:7]
	v_fma_f64 v[69:70], v[89:90], s[12:13], v[69:70]
	;; [unrolled: 1-line block ×6, first 2 shown]
	v_add_f64 v[69:70], v[14:15], v[26:27]
	v_fma_f64 v[4:5], v[67:68], s[12:13], v[4:5]
	v_fma_f64 v[28:29], v[67:68], s[8:9], v[28:29]
	v_fma_f64 v[69:70], v[69:70], -0.5, v[10:11]
	v_add_f64 v[10:11], v[10:11], v[14:15]
	v_add_f64 v[14:15], v[18:19], -v[14:15]
	v_fma_f64 v[4:5], v[0:1], s[6:7], v[4:5]
	v_fma_f64 v[0:1], v[0:1], s[6:7], v[28:29]
	v_add_f64 v[28:29], v[12:13], v[24:25]
	v_add_f64 v[10:11], v[10:11], v[18:19]
	v_add_f64 v[18:19], v[22:23], -v[26:27]
	v_fma_f64 v[28:29], v[28:29], -0.5, v[8:9]
	v_add_f64 v[8:9], v[8:9], v[12:13]
	v_add_f64 v[12:13], v[16:17], -v[12:13]
	v_add_f64 v[10:11], v[10:11], v[22:23]
	v_fma_f64 v[22:23], v[89:90], s[16:17], v[69:70]
	v_add_f64 v[14:15], v[14:15], v[18:19]
	v_add_f64 v[8:9], v[8:9], v[16:17]
	v_fma_f64 v[16:17], v[67:68], s[14:15], v[28:29]
	v_fma_f64 v[28:29], v[67:68], s[16:17], v[28:29]
	;; [unrolled: 1-line block ×3, first 2 shown]
	v_add_f64 v[10:11], v[10:11], v[26:27]
	v_add_f64 v[26:27], v[38:39], v[58:59]
	;; [unrolled: 1-line block ×3, first 2 shown]
	v_add_f64 v[20:21], v[20:21], -v[24:25]
	v_fma_f64 v[16:17], v[30:31], s[12:13], v[16:17]
	v_fma_f64 v[18:19], v[14:15], s[6:7], v[18:19]
	v_add_f64 v[8:9], v[8:9], v[24:25]
	v_fma_f64 v[24:25], v[89:90], s[14:15], v[69:70]
	v_add_f64 v[12:13], v[12:13], v[20:21]
	v_fma_f64 v[20:21], v[30:31], s[8:9], v[28:29]
	ds_read_b128 v[28:31], v64 offset:80
	v_add_f64 v[69:70], v[34:35], -v[62:63]
	v_fma_f64 v[22:23], v[87:88], s[12:13], v[24:25]
	v_fma_f64 v[16:17], v[12:13], s[6:7], v[16:17]
	;; [unrolled: 1-line block ×3, first 2 shown]
	v_add_f64 v[20:21], v[32:33], -v[36:37]
	v_add_f64 v[24:25], v[62:63], -v[58:59]
	;; [unrolled: 1-line block ×3, first 2 shown]
	s_waitcnt lgkmcnt(0)
	v_fma_f64 v[89:90], v[26:27], -0.5, v[30:31]
	v_fma_f64 v[14:15], v[14:15], s[6:7], v[22:23]
	v_add_f64 v[22:23], v[60:61], -v[56:57]
	v_fma_f64 v[26:27], v[101:102], s[14:15], v[89:90]
	v_fma_f64 v[89:90], v[101:102], s[16:17], v[89:90]
	v_add_f64 v[20:21], v[20:21], v[22:23]
	v_add_f64 v[22:23], v[34:35], -v[38:39]
	v_fma_f64 v[26:27], v[103:104], s[8:9], v[26:27]
	v_fma_f64 v[89:90], v[103:104], s[12:13], v[89:90]
	v_add_f64 v[22:23], v[22:23], v[24:25]
	v_add_f64 v[24:25], v[36:37], v[56:57]
	v_fma_f64 v[26:27], v[22:23], s[6:7], v[26:27]
	v_fma_f64 v[67:68], v[24:25], -0.5, v[28:29]
	v_fma_f64 v[22:23], v[22:23], s[6:7], v[89:90]
	v_add_f64 v[89:90], v[34:35], v[62:63]
	v_fma_f64 v[24:25], v[69:70], s[16:17], v[67:68]
	v_fma_f64 v[67:68], v[69:70], s[14:15], v[67:68]
	v_fma_f64 v[89:90], v[89:90], -0.5, v[30:31]
	v_add_f64 v[30:31], v[30:31], v[34:35]
	v_add_f64 v[34:35], v[38:39], -v[34:35]
	v_fma_f64 v[24:25], v[87:88], s[12:13], v[24:25]
	v_fma_f64 v[67:68], v[87:88], s[8:9], v[67:68]
	v_add_f64 v[30:31], v[30:31], v[38:39]
	v_add_f64 v[38:39], v[58:59], -v[62:63]
	v_fma_f64 v[24:25], v[20:21], s[6:7], v[24:25]
	v_fma_f64 v[20:21], v[20:21], s[6:7], v[67:68]
	v_add_f64 v[67:68], v[32:33], v[60:61]
	v_add_f64 v[30:31], v[30:31], v[58:59]
	v_fma_f64 v[58:59], v[103:104], s[16:17], v[89:90]
	v_add_f64 v[34:35], v[34:35], v[38:39]
	v_fma_f64 v[67:68], v[67:68], -0.5, v[28:29]
	v_add_f64 v[28:29], v[28:29], v[32:33]
	v_add_f64 v[32:33], v[36:37], -v[32:33]
	v_fma_f64 v[38:39], v[101:102], s[8:9], v[58:59]
	v_add_f64 v[30:31], v[30:31], v[62:63]
	v_add_f64 v[62:63], v[77:78], v[81:82]
	;; [unrolled: 1-line block ×3, first 2 shown]
	v_fma_f64 v[36:37], v[87:88], s[14:15], v[67:68]
	v_fma_f64 v[67:68], v[87:88], s[16:17], v[67:68]
	;; [unrolled: 1-line block ×3, first 2 shown]
	v_add_f64 v[28:29], v[28:29], v[56:57]
	v_add_f64 v[56:57], v[56:57], -v[60:61]
	v_fma_f64 v[36:37], v[69:70], s[12:13], v[36:37]
	v_add_f64 v[28:29], v[28:29], v[60:61]
	v_fma_f64 v[60:61], v[103:104], s[14:15], v[89:90]
	v_add_f64 v[32:33], v[32:33], v[56:57]
	v_fma_f64 v[56:57], v[69:70], s[8:9], v[67:68]
	v_add_f64 v[89:90], v[73:74], -v[85:86]
	v_fma_f64 v[58:59], v[101:102], s[12:13], v[60:61]
	v_fma_f64 v[36:37], v[32:33], s[6:7], v[36:37]
	v_fma_f64 v[32:33], v[32:33], s[6:7], v[56:57]
	v_add_f64 v[56:57], v[71:72], -v[75:76]
	v_add_f64 v[60:61], v[75:76], v[79:80]
	v_add_f64 v[101:102], v[77:78], -v[81:82]
	v_fma_f64 v[34:35], v[34:35], s[6:7], v[58:59]
	v_add_f64 v[58:59], v[83:84], -v[79:80]
	v_add_f64 v[67:68], v[56:57], v[58:59]
	v_add_f64 v[56:57], v[73:74], -v[77:78]
	v_add_f64 v[58:59], v[85:86], -v[81:82]
	v_add_f64 v[69:70], v[56:57], v[58:59]
	ds_read_b128 v[56:59], v64 offset:160
	s_waitcnt lgkmcnt(0)
	v_fma_f64 v[87:88], v[60:61], -0.5, v[56:57]
	v_fma_f64 v[103:104], v[62:63], -0.5, v[58:59]
	v_fma_f64 v[60:61], v[89:90], s[16:17], v[87:88]
	v_fma_f64 v[87:88], v[89:90], s[14:15], v[87:88]
	;; [unrolled: 1-line block ×10, first 2 shown]
	v_add_f64 v[87:88], v[71:72], v[83:84]
	v_fma_f64 v[62:63], v[69:70], s[6:7], v[62:63]
	v_fma_f64 v[69:70], v[69:70], s[6:7], v[103:104]
	v_add_f64 v[103:104], v[73:74], v[85:86]
	v_fma_f64 v[87:88], v[87:88], -0.5, v[56:57]
	v_add_f64 v[56:57], v[56:57], v[71:72]
	v_add_f64 v[71:72], v[75:76], -v[71:72]
	v_fma_f64 v[103:104], v[103:104], -0.5, v[58:59]
	v_add_f64 v[58:59], v[58:59], v[73:74]
	v_add_f64 v[73:74], v[77:78], -v[73:74]
	v_add_f64 v[56:57], v[56:57], v[75:76]
	v_fma_f64 v[75:76], v[101:102], s[14:15], v[87:88]
	v_fma_f64 v[87:88], v[101:102], s[16:17], v[87:88]
	v_add_f64 v[58:59], v[58:59], v[77:78]
	v_add_f64 v[77:78], v[81:82], -v[85:86]
	v_add_f64 v[56:57], v[56:57], v[79:80]
	v_add_f64 v[79:80], v[79:80], -v[83:84]
	v_add_f64 v[58:59], v[58:59], v[81:82]
	v_fma_f64 v[81:82], v[107:108], s[16:17], v[103:104]
	v_add_f64 v[77:78], v[73:74], v[77:78]
	v_add_f64 v[56:57], v[56:57], v[83:84]
	v_fma_f64 v[83:84], v[107:108], s[14:15], v[103:104]
	v_add_f64 v[79:80], v[71:72], v[79:80]
	v_fma_f64 v[71:72], v[89:90], s[12:13], v[75:76]
	v_fma_f64 v[75:76], v[89:90], s[8:9], v[87:88]
	;; [unrolled: 1-line block ×3, first 2 shown]
	v_add_f64 v[58:59], v[58:59], v[85:86]
	v_add_f64 v[85:86], v[134:135], v[95:96]
	v_add_f64 v[103:104], v[136:137], -v[99:100]
	v_fma_f64 v[81:82], v[105:106], s[12:13], v[83:84]
	v_add_f64 v[83:84], v[91:92], v[93:94]
	v_fma_f64 v[71:72], v[79:80], s[6:7], v[71:72]
	v_fma_f64 v[75:76], v[79:80], s[6:7], v[75:76]
	;; [unrolled: 1-line block ×3, first 2 shown]
	v_add_f64 v[79:80], v[140:141], -v[91:92]
	v_add_f64 v[105:106], v[134:135], -v[95:96]
	v_fma_f64 v[77:78], v[77:78], s[6:7], v[81:82]
	v_add_f64 v[81:82], v[97:98], -v[93:94]
	v_add_f64 v[87:88], v[79:80], v[81:82]
	v_add_f64 v[79:80], v[136:137], -v[134:135]
	v_add_f64 v[81:82], v[99:100], -v[95:96]
	v_add_f64 v[89:90], v[79:80], v[81:82]
	ds_read_b128 v[79:82], v64 offset:240
	s_waitcnt lgkmcnt(0)
	v_fma_f64 v[101:102], v[83:84], -0.5, v[79:80]
	v_fma_f64 v[107:108], v[85:86], -0.5, v[81:82]
	v_fma_f64 v[83:84], v[103:104], s[16:17], v[101:102]
	v_fma_f64 v[85:86], v[109:110], s[14:15], v[107:108]
	;; [unrolled: 1-line block ×12, first 2 shown]
	v_add_f64 v[101:102], v[140:141], v[97:98]
	v_add_f64 v[107:108], v[136:137], v[99:100]
	v_fma_f64 v[101:102], v[101:102], -0.5, v[79:80]
	v_fma_f64 v[107:108], v[107:108], -0.5, v[81:82]
	v_add_f64 v[79:80], v[79:80], v[140:141]
	v_add_f64 v[81:82], v[81:82], v[136:137]
	v_fma_f64 v[113:114], v[105:106], s[14:15], v[101:102]
	v_fma_f64 v[101:102], v[105:106], s[16:17], v[101:102]
	v_add_f64 v[79:80], v[79:80], v[91:92]
	v_add_f64 v[81:82], v[81:82], v[134:135]
	v_add_f64 v[91:92], v[91:92], -v[140:141]
	v_fma_f64 v[105:106], v[111:112], s[14:15], v[107:108]
	v_fma_f64 v[101:102], v[103:104], s[8:9], v[101:102]
	v_add_f64 v[79:80], v[79:80], v[93:94]
	v_add_f64 v[81:82], v[81:82], v[95:96]
	v_add_f64 v[93:94], v[93:94], -v[97:98]
	v_add_f64 v[95:96], v[95:96], -v[99:100]
	v_add_f64 v[79:80], v[79:80], v[97:98]
	v_add_f64 v[81:82], v[81:82], v[99:100]
	v_add_f64 v[97:98], v[134:135], -v[136:137]
	v_fma_f64 v[99:100], v[111:112], s[16:17], v[107:108]
	v_add_f64 v[107:108], v[91:92], v[93:94]
	v_fma_f64 v[91:92], v[103:104], s[12:13], v[113:114]
	v_add_f64 v[103:104], v[126:127], v[128:129]
	v_add_f64 v[134:135], v[122:123], -v[132:133]
	v_add_f64 v[113:114], v[65:66], -v[130:131]
	;; [unrolled: 1-line block ×3, first 2 shown]
	v_add_f64 v[97:98], v[97:98], v[95:96]
	v_fma_f64 v[93:94], v[109:110], s[8:9], v[99:100]
	v_fma_f64 v[99:100], v[109:110], s[12:13], v[105:106]
	;; [unrolled: 1-line block ×3, first 2 shown]
	v_add_f64 v[101:102], v[132:133], -v[128:129]
	v_fma_f64 v[91:92], v[107:108], s[6:7], v[91:92]
	v_add_f64 v[105:106], v[120:121], v[124:125]
	v_fma_f64 v[93:94], v[97:98], s[6:7], v[93:94]
	v_fma_f64 v[97:98], v[97:98], s[6:7], v[99:100]
	v_add_f64 v[99:100], v[122:123], -v[126:127]
	v_add_f64 v[107:108], v[99:100], v[101:102]
	v_add_f64 v[99:100], v[65:66], -v[120:121]
	v_add_f64 v[101:102], v[130:131], -v[124:125]
	v_add_f64 v[109:110], v[99:100], v[101:102]
	ds_read_b128 v[99:102], v64 offset:320
	s_waitcnt lgkmcnt(0)
	v_fma_f64 v[117:118], v[105:106], -0.5, v[101:102]
	v_fma_f64 v[111:112], v[103:104], -0.5, v[99:100]
	v_fma_f64 v[105:106], v[134:135], s[14:15], v[117:118]
	v_fma_f64 v[117:118], v[134:135], s[16:17], v[117:118]
	;; [unrolled: 1-line block ×10, first 2 shown]
	v_add_f64 v[117:118], v[65:66], v[130:131]
	v_fma_f64 v[103:104], v[107:108], s[6:7], v[103:104]
	v_fma_f64 v[107:108], v[107:108], s[6:7], v[111:112]
	v_add_f64 v[111:112], v[122:123], v[132:133]
	v_fma_f64 v[117:118], v[117:118], -0.5, v[101:102]
	v_add_f64 v[101:102], v[101:102], v[65:66]
	v_add_f64 v[65:66], v[120:121], -v[65:66]
	v_fma_f64 v[111:112], v[111:112], -0.5, v[99:100]
	v_add_f64 v[99:100], v[99:100], v[122:123]
	v_add_f64 v[122:123], v[126:127], -v[122:123]
	v_add_f64 v[101:102], v[101:102], v[120:121]
	v_add_f64 v[119:120], v[124:125], -v[130:131]
	v_add_f64 v[99:100], v[99:100], v[126:127]
	v_fma_f64 v[126:127], v[115:116], s[14:15], v[111:112]
	v_fma_f64 v[111:112], v[115:116], s[16:17], v[111:112]
	v_add_f64 v[115:116], v[128:129], -v[132:133]
	v_add_f64 v[101:102], v[101:102], v[124:125]
	v_fma_f64 v[124:125], v[136:137], s[16:17], v[117:118]
	v_fma_f64 v[117:118], v[136:137], s[14:15], v[117:118]
	v_add_f64 v[99:100], v[99:100], v[128:129]
	v_add_f64 v[65:66], v[65:66], v[119:120]
	;; [unrolled: 1-line block ×3, first 2 shown]
	v_fma_f64 v[121:122], v[113:114], s[12:13], v[126:127]
	v_fma_f64 v[126:127], v[113:114], s[8:9], v[111:112]
	v_add_f64 v[101:102], v[101:102], v[130:131]
	v_fma_f64 v[113:114], v[134:135], s[8:9], v[124:125]
	v_fma_f64 v[117:118], v[134:135], s[12:13], v[117:118]
	v_add_f64 v[99:100], v[99:100], v[132:133]
	v_fma_f64 v[111:112], v[115:116], s[6:7], v[121:122]
	v_fma_f64 v[115:116], v[115:116], s[6:7], v[126:127]
	ds_read_b128 v[119:122], v64 offset:400
	s_waitcnt lgkmcnt(0)
	s_barrier
	buffer_gl0_inv
	v_fma_f64 v[113:114], v[65:66], s[6:7], v[113:114]
	v_fma_f64 v[117:118], v[65:66], s[6:7], v[117:118]
	ds_write_b128 v64, v[8:11]
	ds_write_b128 v64, v[4:7] offset:160
	ds_write_b128 v64, v[16:19] offset:320
	;; [unrolled: 1-line block ×24, first 2 shown]
	v_add_f64 v[0:1], v[46:47], -v[42:43]
	v_add_f64 v[2:3], v[50:51], -v[52:53]
	;; [unrolled: 1-line block ×10, first 2 shown]
	v_add_f64 v[4:5], v[0:1], v[2:3]
	v_add_f64 v[0:1], v[48:49], -v[40:41]
	v_add_f64 v[2:3], v[44:45], -v[54:55]
	v_add_f64 v[6:7], v[0:1], v[2:3]
	v_add_f64 v[0:1], v[42:43], v[52:53]
	v_fma_f64 v[8:9], v[0:1], -0.5, v[119:120]
	v_add_f64 v[0:1], v[40:41], v[54:55]
	v_fma_f64 v[10:11], v[0:1], -0.5, v[121:122]
	v_fma_f64 v[0:1], v[12:13], s[14:15], v[8:9]
	v_fma_f64 v[8:9], v[12:13], s[16:17], v[8:9]
	;; [unrolled: 1-line block ×9, first 2 shown]
	v_add_f64 v[8:9], v[46:47], v[50:51]
	v_fma_f64 v[10:11], v[18:19], s[12:13], v[10:11]
	v_fma_f64 v[2:3], v[6:7], s[6:7], v[2:3]
	v_fma_f64 v[20:21], v[8:9], -0.5, v[119:120]
	v_add_f64 v[8:9], v[48:49], v[44:45]
	v_fma_f64 v[6:7], v[6:7], s[6:7], v[10:11]
	v_add_f64 v[10:11], v[121:122], v[40:41]
	v_fma_f64 v[32:33], v[14:15], s[16:17], v[20:21]
	v_fma_f64 v[22:23], v[8:9], -0.5, v[121:122]
	v_add_f64 v[8:9], v[119:120], v[42:43]
	v_add_f64 v[10:11], v[10:11], v[48:49]
	v_fma_f64 v[14:15], v[14:15], s[14:15], v[20:21]
	v_fma_f64 v[20:21], v[18:19], s[14:15], v[22:23]
	v_add_f64 v[8:9], v[8:9], v[46:47]
	v_fma_f64 v[18:19], v[18:19], s[16:17], v[22:23]
	v_add_f64 v[10:11], v[10:11], v[44:45]
	v_add_f64 v[22:23], v[24:25], v[28:29]
	;; [unrolled: 1-line block ×3, first 2 shown]
	v_fma_f64 v[26:27], v[12:13], s[12:13], v[32:33]
	v_fma_f64 v[28:29], v[12:13], s[8:9], v[14:15]
	;; [unrolled: 1-line block ×3, first 2 shown]
	v_add_f64 v[8:9], v[8:9], v[50:51]
	v_fma_f64 v[18:19], v[16:17], s[12:13], v[18:19]
	v_add_f64 v[10:11], v[10:11], v[54:55]
	s_mul_i32 s8, s1, 0xfffff7e0
	v_fma_f64 v[12:13], v[22:23], s[6:7], v[26:27]
	v_fma_f64 v[16:17], v[22:23], s[6:7], v[28:29]
	s_sub_i32 s8, s8, s0
	v_fma_f64 v[14:15], v[24:25], s[6:7], v[14:15]
	v_add_f64 v[8:9], v[8:9], v[52:53]
	v_fma_f64 v[18:19], v[24:25], s[6:7], v[18:19]
	ds_write_b128 v162, v[8:11] offset:1600
	ds_write_b128 v162, v[12:15] offset:1760
	;; [unrolled: 1-line block ×5, first 2 shown]
	s_waitcnt lgkmcnt(0)
	s_barrier
	buffer_gl0_inv
	ds_read_b128 v[0:3], v64 offset:800
	s_clause 0x3
	buffer_load_dword v6, off, s[28:31], 0 offset:664
	buffer_load_dword v7, off, s[28:31], 0 offset:668
	;; [unrolled: 1-line block ×4, first 2 shown]
	s_mul_i32 s6, s1, 0x1e0
	s_mul_hi_u32 s7, s0, 0x1e0
	s_add_i32 s7, s7, s6
	s_mul_i32 s6, s0, 0x1e0
	s_waitcnt vmcnt(0) lgkmcnt(0)
	v_mul_f64 v[4:5], v[8:9], v[2:3]
	v_fma_f64 v[4:5], v[6:7], v[0:1], v[4:5]
	v_mul_f64 v[0:1], v[8:9], v[0:1]
	v_fma_f64 v[6:7], v[6:7], v[2:3], -v[0:1]
	ds_read_b128 v[0:3], v64 offset:1600
	s_waitcnt lgkmcnt(0)
	v_mul_f64 v[8:9], v[202:203], v[2:3]
	v_fma_f64 v[8:9], v[200:201], v[0:1], v[8:9]
	v_mul_f64 v[0:1], v[202:203], v[0:1]
	v_fma_f64 v[10:11], v[200:201], v[2:3], -v[0:1]
	ds_read_b128 v[0:3], v64 offset:880
	s_waitcnt lgkmcnt(0)
	v_mul_f64 v[12:13], v[198:199], v[2:3]
	v_add_f64 v[14:15], v[6:7], v[10:11]
	v_fma_f64 v[16:17], v[196:197], v[0:1], v[12:13]
	v_mul_f64 v[0:1], v[198:199], v[0:1]
	v_fma_f64 v[18:19], v[196:197], v[2:3], -v[0:1]
	ds_read_b128 v[0:3], v64 offset:1680
	s_clause 0x3
	buffer_load_dword v22, off, s[28:31], 0 offset:632
	buffer_load_dword v23, off, s[28:31], 0 offset:636
	buffer_load_dword v24, off, s[28:31], 0 offset:640
	buffer_load_dword v25, off, s[28:31], 0 offset:644
	s_waitcnt vmcnt(0) lgkmcnt(0)
	v_mul_f64 v[12:13], v[24:25], v[2:3]
	v_fma_f64 v[20:21], v[22:23], v[0:1], v[12:13]
	v_mul_f64 v[0:1], v[24:25], v[0:1]
	v_fma_f64 v[22:23], v[22:23], v[2:3], -v[0:1]
	ds_read_b128 v[0:3], v64 offset:960
	s_clause 0x3
	buffer_load_dword v24, off, s[28:31], 0 offset:648
	buffer_load_dword v25, off, s[28:31], 0 offset:652
	;; [unrolled: 1-line block ×4, first 2 shown]
	s_waitcnt vmcnt(0) lgkmcnt(0)
	v_mul_f64 v[12:13], v[26:27], v[2:3]
	v_fma_f64 v[28:29], v[24:25], v[0:1], v[12:13]
	v_mul_f64 v[0:1], v[26:27], v[0:1]
	v_add_f64 v[26:27], v[18:19], v[22:23]
	v_fma_f64 v[30:31], v[24:25], v[2:3], -v[0:1]
	ds_read_b128 v[0:3], v64 offset:1760
	v_add_f64 v[24:25], v[16:17], v[20:21]
	s_waitcnt lgkmcnt(0)
	v_mul_f64 v[12:13], v[206:207], v[2:3]
	v_fma_f64 v[32:33], v[204:205], v[0:1], v[12:13]
	v_mul_f64 v[0:1], v[206:207], v[0:1]
	v_add_f64 v[36:37], v[28:29], v[32:33]
	v_fma_f64 v[34:35], v[204:205], v[2:3], -v[0:1]
	ds_read_b128 v[0:3], v64 offset:1040
	s_waitcnt lgkmcnt(0)
	v_mul_f64 v[12:13], v[210:211], v[2:3]
	v_add_f64 v[38:39], v[30:31], v[34:35]
	v_fma_f64 v[40:41], v[208:209], v[0:1], v[12:13]
	v_mul_f64 v[0:1], v[210:211], v[0:1]
	v_fma_f64 v[42:43], v[208:209], v[2:3], -v[0:1]
	ds_read_b128 v[0:3], v64 offset:1840
	s_waitcnt lgkmcnt(0)
	v_mul_f64 v[12:13], v[214:215], v[2:3]
	v_fma_f64 v[44:45], v[212:213], v[0:1], v[12:13]
	v_mul_f64 v[0:1], v[214:215], v[0:1]
	v_add_f64 v[48:49], v[40:41], v[44:45]
	v_fma_f64 v[46:47], v[212:213], v[2:3], -v[0:1]
	ds_read_b128 v[0:3], v64 offset:1120
	s_waitcnt lgkmcnt(0)
	v_mul_f64 v[12:13], v[218:219], v[2:3]
	v_add_f64 v[50:51], v[42:43], v[46:47]
	v_fma_f64 v[52:53], v[216:217], v[0:1], v[12:13]
	v_mul_f64 v[0:1], v[218:219], v[0:1]
	v_fma_f64 v[54:55], v[216:217], v[2:3], -v[0:1]
	ds_read_b128 v[0:3], v64 offset:1920
	s_waitcnt lgkmcnt(0)
	v_mul_f64 v[12:13], v[222:223], v[2:3]
	v_fma_f64 v[56:57], v[220:221], v[0:1], v[12:13]
	v_mul_f64 v[0:1], v[222:223], v[0:1]
	v_add_f64 v[60:61], v[52:53], v[56:57]
	v_fma_f64 v[58:59], v[220:221], v[2:3], -v[0:1]
	ds_read_b128 v[0:3], v64 offset:1200
	s_waitcnt lgkmcnt(0)
	v_mul_f64 v[12:13], v[238:239], v[2:3]
	v_add_f64 v[62:63], v[54:55], v[58:59]
	v_fma_f64 v[65:66], v[236:237], v[0:1], v[12:13]
	v_mul_f64 v[0:1], v[238:239], v[0:1]
	v_fma_f64 v[67:68], v[236:237], v[2:3], -v[0:1]
	ds_read_b128 v[0:3], v64 offset:2000
	s_waitcnt lgkmcnt(0)
	v_mul_f64 v[12:13], v[246:247], v[2:3]
	v_fma_f64 v[69:70], v[244:245], v[0:1], v[12:13]
	v_mul_f64 v[0:1], v[246:247], v[0:1]
	v_add_f64 v[73:74], v[65:66], v[69:70]
	v_fma_f64 v[71:72], v[244:245], v[2:3], -v[0:1]
	ds_read_b128 v[0:3], v64 offset:1280
	s_waitcnt lgkmcnt(0)
	v_mul_f64 v[12:13], v[250:251], v[2:3]
	v_add_f64 v[75:76], v[67:68], v[71:72]
	v_fma_f64 v[77:78], v[248:249], v[0:1], v[12:13]
	v_mul_f64 v[0:1], v[250:251], v[0:1]
	v_fma_f64 v[79:80], v[248:249], v[2:3], -v[0:1]
	ds_read_b128 v[0:3], v64 offset:2080
	s_waitcnt lgkmcnt(0)
	v_mul_f64 v[12:13], v[194:195], v[2:3]
	v_fma_f64 v[81:82], v[192:193], v[0:1], v[12:13]
	v_mul_f64 v[0:1], v[194:195], v[0:1]
	v_add_f64 v[85:86], v[77:78], v[81:82]
	v_fma_f64 v[83:84], v[192:193], v[2:3], -v[0:1]
	ds_read_b128 v[0:3], v64 offset:1360
	s_waitcnt lgkmcnt(0)
	v_mul_f64 v[12:13], v[190:191], v[2:3]
	v_add_f64 v[87:88], v[79:80], v[83:84]
	v_fma_f64 v[89:90], v[188:189], v[0:1], v[12:13]
	v_mul_f64 v[0:1], v[190:191], v[0:1]
	v_fma_f64 v[91:92], v[188:189], v[2:3], -v[0:1]
	ds_read_b128 v[0:3], v64 offset:2160
	s_waitcnt lgkmcnt(0)
	v_mul_f64 v[12:13], v[242:243], v[2:3]
	v_fma_f64 v[93:94], v[240:241], v[0:1], v[12:13]
	v_mul_f64 v[0:1], v[242:243], v[0:1]
	v_add_f64 v[97:98], v[89:90], v[93:94]
	v_fma_f64 v[95:96], v[240:241], v[2:3], -v[0:1]
	ds_read_b128 v[0:3], v64 offset:1440
	s_waitcnt lgkmcnt(0)
	v_mul_f64 v[12:13], v[254:255], v[2:3]
	v_add_f64 v[99:100], v[91:92], v[95:96]
	v_fma_f64 v[101:102], v[252:253], v[0:1], v[12:13]
	v_mul_f64 v[0:1], v[254:255], v[0:1]
	v_fma_f64 v[103:104], v[252:253], v[2:3], -v[0:1]
	ds_read_b128 v[0:3], v64 offset:2240
	s_waitcnt lgkmcnt(0)
	v_mul_f64 v[12:13], v[230:231], v[2:3]
	v_fma_f64 v[105:106], v[228:229], v[0:1], v[12:13]
	v_mul_f64 v[0:1], v[230:231], v[0:1]
	v_add_f64 v[109:110], v[101:102], v[105:106]
	v_fma_f64 v[107:108], v[228:229], v[2:3], -v[0:1]
	ds_read_b128 v[0:3], v64 offset:1520
	s_waitcnt lgkmcnt(0)
	v_mul_f64 v[12:13], v[234:235], v[2:3]
	v_add_f64 v[111:112], v[103:104], v[107:108]
	v_fma_f64 v[113:114], v[232:233], v[0:1], v[12:13]
	v_mul_f64 v[0:1], v[234:235], v[0:1]
	v_fma_f64 v[115:116], v[232:233], v[2:3], -v[0:1]
	ds_read_b128 v[0:3], v64 offset:2320
	s_waitcnt lgkmcnt(0)
	v_mul_f64 v[12:13], v[226:227], v[2:3]
	v_fma_f64 v[117:118], v[224:225], v[0:1], v[12:13]
	v_mul_f64 v[0:1], v[226:227], v[0:1]
	v_add_f64 v[12:13], v[4:5], v[8:9]
	v_add_f64 v[121:122], v[113:114], v[117:118]
	v_fma_f64 v[119:120], v[224:225], v[2:3], -v[0:1]
	ds_read_b128 v[0:3], v64
	s_waitcnt lgkmcnt(0)
	v_fma_f64 v[14:15], v[14:15], -0.5, v[2:3]
	v_add_f64 v[2:3], v[2:3], v[6:7]
	v_fma_f64 v[12:13], v[12:13], -0.5, v[0:1]
	v_add_f64 v[0:1], v[0:1], v[4:5]
	v_add_f64 v[6:7], v[6:7], -v[10:11]
	v_add_f64 v[123:124], v[115:116], v[119:120]
	v_add_f64 v[2:3], v[2:3], v[10:11]
	v_add_f64 v[10:11], v[4:5], -v[8:9]
	v_add_f64 v[0:1], v[0:1], v[8:9]
	v_fma_f64 v[4:5], v[6:7], s[10:11], v[12:13]
	v_fma_f64 v[8:9], v[6:7], s[24:25], v[12:13]
	v_fma_f64 v[6:7], v[10:11], s[24:25], v[14:15]
	v_fma_f64 v[10:11], v[10:11], s[10:11], v[14:15]
	ds_read_b128 v[12:15], v64 offset:80
	s_waitcnt lgkmcnt(0)
	v_fma_f64 v[26:27], v[26:27], -0.5, v[14:15]
	v_add_f64 v[14:15], v[14:15], v[18:19]
	v_fma_f64 v[24:25], v[24:25], -0.5, v[12:13]
	v_add_f64 v[12:13], v[12:13], v[16:17]
	v_add_f64 v[18:19], v[18:19], -v[22:23]
	v_add_f64 v[14:15], v[14:15], v[22:23]
	v_add_f64 v[22:23], v[16:17], -v[20:21]
	v_add_f64 v[12:13], v[12:13], v[20:21]
	v_fma_f64 v[16:17], v[18:19], s[10:11], v[24:25]
	v_fma_f64 v[20:21], v[18:19], s[24:25], v[24:25]
	v_fma_f64 v[18:19], v[22:23], s[24:25], v[26:27]
	v_fma_f64 v[22:23], v[22:23], s[10:11], v[26:27]
	ds_read_b128 v[24:27], v64 offset:160
	s_waitcnt lgkmcnt(0)
	v_fma_f64 v[38:39], v[38:39], -0.5, v[26:27]
	v_add_f64 v[26:27], v[26:27], v[30:31]
	v_fma_f64 v[36:37], v[36:37], -0.5, v[24:25]
	v_add_f64 v[24:25], v[24:25], v[28:29]
	v_add_f64 v[30:31], v[30:31], -v[34:35]
	v_add_f64 v[26:27], v[26:27], v[34:35]
	v_add_f64 v[34:35], v[28:29], -v[32:33]
	v_add_f64 v[24:25], v[24:25], v[32:33]
	v_fma_f64 v[28:29], v[30:31], s[10:11], v[36:37]
	v_fma_f64 v[32:33], v[30:31], s[24:25], v[36:37]
	v_fma_f64 v[30:31], v[34:35], s[24:25], v[38:39]
	v_fma_f64 v[34:35], v[34:35], s[10:11], v[38:39]
	ds_read_b128 v[36:39], v64 offset:240
	s_waitcnt lgkmcnt(0)
	v_fma_f64 v[50:51], v[50:51], -0.5, v[38:39]
	v_add_f64 v[38:39], v[38:39], v[42:43]
	v_fma_f64 v[48:49], v[48:49], -0.5, v[36:37]
	v_add_f64 v[36:37], v[36:37], v[40:41]
	v_add_f64 v[42:43], v[42:43], -v[46:47]
	v_add_f64 v[38:39], v[38:39], v[46:47]
	v_add_f64 v[46:47], v[40:41], -v[44:45]
	v_add_f64 v[36:37], v[36:37], v[44:45]
	v_fma_f64 v[40:41], v[42:43], s[10:11], v[48:49]
	v_fma_f64 v[44:45], v[42:43], s[24:25], v[48:49]
	v_fma_f64 v[42:43], v[46:47], s[24:25], v[50:51]
	v_fma_f64 v[46:47], v[46:47], s[10:11], v[50:51]
	ds_read_b128 v[48:51], v64 offset:320
	s_waitcnt lgkmcnt(0)
	v_fma_f64 v[62:63], v[62:63], -0.5, v[50:51]
	v_add_f64 v[50:51], v[50:51], v[54:55]
	v_fma_f64 v[60:61], v[60:61], -0.5, v[48:49]
	v_add_f64 v[48:49], v[48:49], v[52:53]
	v_add_f64 v[54:55], v[54:55], -v[58:59]
	v_add_f64 v[50:51], v[50:51], v[58:59]
	v_add_f64 v[58:59], v[52:53], -v[56:57]
	v_add_f64 v[48:49], v[48:49], v[56:57]
	v_fma_f64 v[52:53], v[54:55], s[10:11], v[60:61]
	v_fma_f64 v[56:57], v[54:55], s[24:25], v[60:61]
	v_fma_f64 v[54:55], v[58:59], s[24:25], v[62:63]
	v_fma_f64 v[58:59], v[58:59], s[10:11], v[62:63]
	ds_read_b128 v[60:63], v64 offset:400
	s_waitcnt lgkmcnt(0)
	v_fma_f64 v[75:76], v[75:76], -0.5, v[62:63]
	v_add_f64 v[62:63], v[62:63], v[67:68]
	v_fma_f64 v[73:74], v[73:74], -0.5, v[60:61]
	v_add_f64 v[60:61], v[60:61], v[65:66]
	v_add_f64 v[67:68], v[67:68], -v[71:72]
	v_add_f64 v[62:63], v[62:63], v[71:72]
	v_add_f64 v[71:72], v[65:66], -v[69:70]
	v_add_f64 v[60:61], v[60:61], v[69:70]
	v_fma_f64 v[65:66], v[67:68], s[10:11], v[73:74]
	v_fma_f64 v[69:70], v[67:68], s[24:25], v[73:74]
	v_fma_f64 v[67:68], v[71:72], s[24:25], v[75:76]
	v_fma_f64 v[71:72], v[71:72], s[10:11], v[75:76]
	ds_read_b128 v[73:76], v64 offset:480
	s_waitcnt lgkmcnt(0)
	v_fma_f64 v[87:88], v[87:88], -0.5, v[75:76]
	v_add_f64 v[75:76], v[75:76], v[79:80]
	v_fma_f64 v[85:86], v[85:86], -0.5, v[73:74]
	v_add_f64 v[73:74], v[73:74], v[77:78]
	v_add_f64 v[79:80], v[79:80], -v[83:84]
	v_add_f64 v[75:76], v[75:76], v[83:84]
	v_add_f64 v[83:84], v[77:78], -v[81:82]
	v_add_f64 v[73:74], v[73:74], v[81:82]
	v_fma_f64 v[77:78], v[79:80], s[10:11], v[85:86]
	v_fma_f64 v[81:82], v[79:80], s[24:25], v[85:86]
	v_fma_f64 v[79:80], v[83:84], s[24:25], v[87:88]
	v_fma_f64 v[83:84], v[83:84], s[10:11], v[87:88]
	ds_read_b128 v[85:88], v64 offset:560
	s_waitcnt lgkmcnt(0)
	v_fma_f64 v[99:100], v[99:100], -0.5, v[87:88]
	v_add_f64 v[87:88], v[87:88], v[91:92]
	v_fma_f64 v[97:98], v[97:98], -0.5, v[85:86]
	v_add_f64 v[85:86], v[85:86], v[89:90]
	v_add_f64 v[91:92], v[91:92], -v[95:96]
	v_add_f64 v[87:88], v[87:88], v[95:96]
	v_add_f64 v[95:96], v[89:90], -v[93:94]
	v_add_f64 v[85:86], v[85:86], v[93:94]
	v_fma_f64 v[89:90], v[91:92], s[10:11], v[97:98]
	v_fma_f64 v[93:94], v[91:92], s[24:25], v[97:98]
	v_fma_f64 v[91:92], v[95:96], s[24:25], v[99:100]
	v_fma_f64 v[95:96], v[95:96], s[10:11], v[99:100]
	ds_read_b128 v[97:100], v64 offset:640
	s_waitcnt lgkmcnt(0)
	v_fma_f64 v[111:112], v[111:112], -0.5, v[99:100]
	v_add_f64 v[99:100], v[99:100], v[103:104]
	v_fma_f64 v[109:110], v[109:110], -0.5, v[97:98]
	v_add_f64 v[97:98], v[97:98], v[101:102]
	v_add_f64 v[103:104], v[103:104], -v[107:108]
	v_add_f64 v[99:100], v[99:100], v[107:108]
	v_add_f64 v[107:108], v[101:102], -v[105:106]
	v_add_f64 v[97:98], v[97:98], v[105:106]
	v_fma_f64 v[101:102], v[103:104], s[10:11], v[109:110]
	v_fma_f64 v[105:106], v[103:104], s[24:25], v[109:110]
	v_fma_f64 v[103:104], v[107:108], s[24:25], v[111:112]
	v_fma_f64 v[107:108], v[107:108], s[10:11], v[111:112]
	ds_read_b128 v[109:112], v64 offset:720
	s_waitcnt lgkmcnt(0)
	v_fma_f64 v[123:124], v[123:124], -0.5, v[111:112]
	v_add_f64 v[111:112], v[111:112], v[115:116]
	v_fma_f64 v[121:122], v[121:122], -0.5, v[109:110]
	v_add_f64 v[109:110], v[109:110], v[113:114]
	v_add_f64 v[115:116], v[115:116], -v[119:120]
	v_add_f64 v[111:112], v[111:112], v[119:120]
	v_add_f64 v[119:120], v[113:114], -v[117:118]
	v_add_f64 v[109:110], v[109:110], v[117:118]
	v_fma_f64 v[113:114], v[115:116], s[10:11], v[121:122]
	v_fma_f64 v[117:118], v[115:116], s[24:25], v[121:122]
	;; [unrolled: 1-line block ×4, first 2 shown]
	ds_write_b128 v64, v[0:3]
	ds_write_b128 v64, v[4:7] offset:800
	ds_write_b128 v64, v[8:11] offset:1600
	;; [unrolled: 1-line block ×29, first 2 shown]
	s_waitcnt lgkmcnt(0)
	s_barrier
	buffer_gl0_inv
	ds_read_b128 v[0:3], v64
	s_clause 0x3
	buffer_load_dword v6, off, s[28:31], 0 offset:480
	buffer_load_dword v7, off, s[28:31], 0 offset:484
	buffer_load_dword v8, off, s[28:31], 0 offset:488
	buffer_load_dword v9, off, s[28:31], 0 offset:492
	s_waitcnt vmcnt(0) lgkmcnt(0)
	v_mul_f64 v[4:5], v[8:9], v[2:3]
	v_fma_f64 v[4:5], v[6:7], v[0:1], v[4:5]
	v_mul_f64 v[0:1], v[8:9], v[0:1]
	v_fma_f64 v[6:7], v[6:7], v[2:3], -v[0:1]
	ds_read_b128 v[0:3], v64 offset:240
	s_clause 0x3
	buffer_load_dword v10, off, s[28:31], 0 offset:464
	buffer_load_dword v11, off, s[28:31], 0 offset:468
	buffer_load_dword v12, off, s[28:31], 0 offset:472
	buffer_load_dword v13, off, s[28:31], 0 offset:476
	s_waitcnt vmcnt(0) lgkmcnt(0)
	v_mul_f64 v[8:9], v[12:13], v[2:3]
	v_fma_f64 v[8:9], v[10:11], v[0:1], v[8:9]
	v_mul_f64 v[0:1], v[12:13], v[0:1]
	v_fma_f64 v[10:11], v[10:11], v[2:3], -v[0:1]
	ds_read_b128 v[0:3], v64 offset:480
	;; [unrolled: 11-line block ×16, first 2 shown]
	s_clause 0x3
	buffer_load_dword v71, off, s[28:31], 0 offset:248
	buffer_load_dword v72, off, s[28:31], 0 offset:252
	;; [unrolled: 1-line block ×4, first 2 shown]
	s_waitcnt vmcnt(0) lgkmcnt(0)
	v_mul_f64 v[69:70], v[73:74], v[2:3]
	v_fma_f64 v[69:70], v[71:72], v[0:1], v[69:70]
	v_mul_f64 v[0:1], v[73:74], v[0:1]
	v_fma_f64 v[71:72], v[71:72], v[2:3], -v[0:1]
	s_clause 0x1
	buffer_load_dword v1, off, s[28:31], 0 offset:376
	buffer_load_dword v2, off, s[28:31], 0 offset:380
	s_waitcnt vmcnt(1)
	v_mad_u64_u32 v[73:74], null, s2, v1, 0
	v_mov_b32_e32 v0, v74
	v_mad_u64_u32 v[0:1], null, s3, v1, v[0:1]
	buffer_load_dword v1, off, s[28:31], 0 offset:496 ; 4-byte Folded Reload
	s_mov_b32 s2, 0xb4e81b4f
	s_mov_b32 s3, 0x3f7b4e81
	s_waitcnt vmcnt(1)
	v_mul_f64 v[2:3], v[6:7], s[2:3]
	v_mul_f64 v[6:7], v[22:23], s[2:3]
	v_mov_b32_e32 v74, v0
	s_waitcnt vmcnt(0)
	v_mad_u64_u32 v[75:76], null, s0, v1, 0
	v_mov_b32_e32 v0, v76
	v_mad_u64_u32 v[0:1], null, s1, v1, v[0:1]
	v_mov_b32_e32 v76, v0
	v_mul_f64 v[0:1], v[4:5], s[2:3]
	v_lshlrev_b64 v[4:5], 4, v[73:74]
	v_add_co_u32 v89, vcc_lo, s4, v4
	v_add_co_ci_u32_e32 v90, vcc_lo, s5, v5, vcc_lo
	v_lshlrev_b64 v[4:5], 4, v[75:76]
	s_mul_i32 s4, s1, 0xf0
	s_mul_hi_u32 s5, s0, 0xf0
	s_add_i32 s4, s5, s4
	s_mul_i32 s5, s0, 0xf0
	v_add_co_u32 v4, vcc_lo, v89, v4
	v_add_co_ci_u32_e32 v5, vcc_lo, v90, v5, vcc_lo
	global_store_dwordx4 v[4:5], v[0:3], off
	v_mul_f64 v[0:1], v[8:9], s[2:3]
	v_mul_f64 v[2:3], v[10:11], s[2:3]
	v_add_co_u32 v4, vcc_lo, v4, s5
	v_add_co_ci_u32_e32 v5, vcc_lo, s4, v5, vcc_lo
	v_mul_f64 v[10:11], v[30:31], s[2:3]
	v_add_co_u32 v8, vcc_lo, v4, s5
	v_add_co_ci_u32_e32 v9, vcc_lo, s4, v5, vcc_lo
	global_store_dwordx4 v[4:5], v[0:3], off
	v_mul_f64 v[0:1], v[12:13], s[2:3]
	v_mul_f64 v[2:3], v[14:15], s[2:3]
	;; [unrolled: 1-line block ×3, first 2 shown]
	ds_read_b128 v[12:15], v64 offset:1760
	global_store_dwordx4 v[8:9], v[0:3], off
	v_mul_f64 v[0:1], v[16:17], s[2:3]
	v_mul_f64 v[2:3], v[18:19], s[2:3]
	v_add_co_u32 v8, vcc_lo, v8, s5
	v_add_co_ci_u32_e32 v9, vcc_lo, s4, v9, vcc_lo
	v_add_co_u32 v16, vcc_lo, v8, s5
	v_add_co_ci_u32_e32 v17, vcc_lo, s4, v9, vcc_lo
	global_store_dwordx4 v[8:9], v[0:3], off
	v_mul_f64 v[0:1], v[24:25], s[2:3]
	v_mul_f64 v[2:3], v[26:27], s[2:3]
	global_store_dwordx4 v[16:17], v[4:7], off
	v_add_co_u32 v4, vcc_lo, v16, s5
	v_add_co_ci_u32_e32 v5, vcc_lo, s4, v17, vcc_lo
	buffer_load_dword v6, off, s[28:31], 0 offset:4 ; 4-byte Folded Reload
	v_add_co_u32 v16, vcc_lo, v4, s5
	v_mul_f64 v[8:9], v[28:29], s[2:3]
	v_add_co_ci_u32_e32 v17, vcc_lo, s4, v5, vcc_lo
	v_add_co_u32 v26, vcc_lo, v16, s5
	v_add_co_ci_u32_e32 v27, vcc_lo, s4, v17, vcc_lo
	global_store_dwordx4 v[4:5], v[0:3], off
	s_clause 0x3
	buffer_load_dword v1, off, s[28:31], 0 offset:232
	buffer_load_dword v2, off, s[28:31], 0 offset:236
	;; [unrolled: 1-line block ×4, first 2 shown]
	global_store_dwordx4 v[16:17], v[8:11], off
	v_mul_f64 v[8:9], v[36:37], s[2:3]
	v_mul_f64 v[10:11], v[38:39], s[2:3]
	s_waitcnt vmcnt(4)
	v_mad_u64_u32 v[20:21], null, s0, v6, 0
	v_mov_b32_e32 v0, v21
	s_waitcnt vmcnt(0) lgkmcnt(0)
	v_mul_f64 v[22:23], v[3:4], v[14:15]
	v_mul_f64 v[24:25], v[3:4], v[12:13]
	v_mad_u64_u32 v[18:19], null, s1, v6, v[0:1]
	v_mov_b32_e32 v31, v2
	v_mov_b32_e32 v30, v1
	ds_read_b128 v[0:3], v64 offset:2000
	v_mul_f64 v[6:7], v[34:35], s[2:3]
	v_mul_f64 v[4:5], v[32:33], s[2:3]
	v_mov_b32_e32 v21, v18
	ds_read_b128 v[16:19], v64 offset:160
	v_lshlrev_b64 v[28:29], 4, v[20:21]
	v_mul_f64 v[20:21], v[40:41], s[2:3]
	v_fma_f64 v[73:74], v[30:31], v[12:13], v[22:23]
	v_fma_f64 v[75:76], v[30:31], v[14:15], -v[24:25]
	ds_read_b128 v[12:15], v64 offset:2240
	s_clause 0x3
	buffer_load_dword v34, off, s[28:31], 0 offset:200
	buffer_load_dword v35, off, s[28:31], 0 offset:204
	;; [unrolled: 1-line block ×4, first 2 shown]
	v_mul_f64 v[22:23], v[42:43], s[2:3]
	global_store_dwordx4 v[26:27], v[4:7], off
	v_mul_f64 v[4:5], v[44:45], s[2:3]
	v_mul_f64 v[6:7], v[46:47], s[2:3]
	s_waitcnt vmcnt(2)
	v_mov_b32_e32 v43, v35
	v_mov_b32_e32 v42, v34
	v_add_co_u32 v34, vcc_lo, v26, s6
	v_add_co_ci_u32_e32 v35, vcc_lo, s7, v27, vcc_lo
	v_add_co_u32 v24, vcc_lo, v89, v28
	v_add_co_ci_u32_e32 v25, vcc_lo, v90, v29, vcc_lo
	s_clause 0x3
	buffer_load_dword v26, off, s[28:31], 0 offset:184
	buffer_load_dword v27, off, s[28:31], 0 offset:188
	;; [unrolled: 1-line block ×4, first 2 shown]
	s_waitcnt vmcnt(4) lgkmcnt(2)
	v_mul_f64 v[30:31], v[36:37], v[2:3]
	v_mul_f64 v[32:33], v[36:37], v[0:1]
	global_store_dwordx4 v[24:25], v[8:11], off
	global_store_dwordx4 v[34:35], v[20:23], off
	v_mul_f64 v[8:9], v[48:49], s[2:3]
	v_mul_f64 v[10:11], v[50:51], s[2:3]
	v_mad_u64_u32 v[40:41], null, 0xfffff7e0, s0, v[34:35]
	v_add_nc_u32_e32 v41, s8, v41
	v_fma_f64 v[48:49], v[42:43], v[0:1], v[30:31]
	v_fma_f64 v[50:51], v[42:43], v[2:3], -v[32:33]
	ds_read_b128 v[0:3], v64 offset:1120
	v_add_co_u32 v32, vcc_lo, v40, s5
	v_add_co_ci_u32_e32 v33, vcc_lo, s4, v41, vcc_lo
	v_add_co_u32 v81, vcc_lo, v32, s5
	v_add_co_ci_u32_e32 v82, vcc_lo, s4, v33, vcc_lo
	v_mul_f64 v[48:49], v[48:49], s[2:3]
	v_mul_f64 v[50:51], v[50:51], s[2:3]
	s_waitcnt vmcnt(2)
	v_mov_b32_e32 v80, v27
	s_waitcnt vmcnt(0) lgkmcnt(1)
	v_mul_f64 v[36:37], v[28:29], v[14:15]
	v_mul_f64 v[38:39], v[28:29], v[12:13]
	v_mov_b32_e32 v79, v26
	ds_read_b128 v[24:27], v64 offset:640
	ds_read_b128 v[28:31], v64 offset:400
	s_clause 0x3
	buffer_load_dword v20, off, s[28:31], 0 offset:168
	buffer_load_dword v21, off, s[28:31], 0 offset:172
	;; [unrolled: 1-line block ×4, first 2 shown]
	v_fma_f64 v[77:78], v[79:80], v[12:13], v[36:37]
	v_fma_f64 v[79:80], v[79:80], v[14:15], -v[38:39]
	s_waitcnt vmcnt(2)
	v_mov_b32_e32 v47, v21
	s_waitcnt vmcnt(0)
	v_mul_f64 v[42:43], v[22:23], v[18:19]
	v_mul_f64 v[44:45], v[22:23], v[16:17]
	v_mov_b32_e32 v46, v20
	ds_read_b128 v[12:15], v64 offset:1600
	ds_read_b128 v[20:23], v64 offset:2080
	buffer_load_dword v36, off, s[28:31], 0 ; 4-byte Folded Reload
	global_store_dwordx4 v[40:41], v[4:7], off
	global_store_dwordx4 v[32:33], v[8:11], off
	ds_read_b128 v[4:7], v64 offset:880
	ds_read_b128 v[32:35], v64 offset:1360
	s_clause 0x3
	buffer_load_dword v37, off, s[28:31], 0 offset:152
	buffer_load_dword v38, off, s[28:31], 0 offset:156
	;; [unrolled: 1-line block ×4, first 2 shown]
	v_mul_f64 v[8:9], v[52:53], s[2:3]
	v_mul_f64 v[10:11], v[54:55], s[2:3]
	v_fma_f64 v[83:84], v[46:47], v[16:17], v[42:43]
	v_fma_f64 v[85:86], v[46:47], v[18:19], -v[44:45]
	v_mul_f64 v[46:47], v[71:72], s[2:3]
	v_mul_f64 v[16:17], v[56:57], s[2:3]
	;; [unrolled: 1-line block ×4, first 2 shown]
	global_store_dwordx4 v[81:82], v[8:11], off
	s_clause 0x3
	buffer_load_dword v8, off, s[28:31], 0 offset:8
	buffer_load_dword v9, off, s[28:31], 0 offset:12
	;; [unrolled: 1-line block ×4, first 2 shown]
	v_mul_f64 v[56:57], v[83:84], s[2:3]
	s_waitcnt vmcnt(8)
	v_mad_u64_u32 v[52:53], null, s0, v36, 0
	s_waitcnt vmcnt(4) lgkmcnt(4)
	v_mul_f64 v[54:55], v[39:40], v[30:31]
	v_mul_f64 v[87:88], v[39:40], v[28:29]
	v_mov_b32_e32 v92, v38
	v_mov_b32_e32 v18, v53
	;; [unrolled: 1-line block ×3, first 2 shown]
	v_mul_f64 v[38:39], v[62:63], s[2:3]
	v_mad_u64_u32 v[40:41], null, s1, v36, v[18:19]
	v_mul_f64 v[36:37], v[60:61], s[2:3]
	v_add_co_u32 v60, vcc_lo, v81, s5
	v_add_co_ci_u32_e32 v61, vcc_lo, s4, v82, vcc_lo
	v_mul_f64 v[18:19], v[58:59], s[2:3]
	v_add_co_u32 v62, vcc_lo, v60, s5
	v_add_co_ci_u32_e32 v63, vcc_lo, s4, v61, vcc_lo
	v_mov_b32_e32 v53, v40
	v_add_co_u32 v71, vcc_lo, v62, s6
	v_add_co_ci_u32_e32 v72, vcc_lo, s7, v63, vcc_lo
	v_mul_f64 v[40:41], v[65:66], s[2:3]
	v_fma_f64 v[67:68], v[91:92], v[28:29], v[54:55]
	v_mul_f64 v[28:29], v[73:74], s[2:3]
	v_add_co_u32 v73, vcc_lo, v71, s5
	v_add_co_ci_u32_e32 v74, vcc_lo, s4, v72, vcc_lo
	v_fma_f64 v[69:70], v[91:92], v[30:31], -v[87:88]
	v_mul_f64 v[30:31], v[75:76], s[2:3]
	v_add_co_u32 v75, vcc_lo, v73, s5
	v_lshlrev_b64 v[65:66], 4, v[52:53]
	v_add_co_ci_u32_e32 v76, vcc_lo, s4, v74, vcc_lo
	v_mul_f64 v[52:53], v[77:78], s[2:3]
	v_add_co_u32 v77, vcc_lo, v75, s5
	v_add_co_ci_u32_e32 v78, vcc_lo, s4, v76, vcc_lo
	v_add_co_u32 v65, vcc_lo, v89, v65
	v_add_co_ci_u32_e32 v66, vcc_lo, v90, v66, vcc_lo
	v_mul_f64 v[58:59], v[85:86], s[2:3]
	s_waitcnt vmcnt(2)
	v_mov_b32_e32 v86, v9
	global_store_dwordx4 v[60:61], v[16:19], off
	v_mul_f64 v[54:55], v[79:80], s[2:3]
	s_waitcnt vmcnt(0)
	v_mul_f64 v[79:80], v[10:11], v[26:27]
	v_mul_f64 v[81:82], v[10:11], v[24:25]
	v_mov_b32_e32 v85, v8
	ds_read_b128 v[8:11], v64 offset:1840
	ds_read_b128 v[16:19], v64 offset:2320
	global_store_dwordx4 v[62:63], v[36:39], off
	global_store_dwordx4 v[65:66], v[40:43], off
	;; [unrolled: 1-line block ×3, first 2 shown]
	s_clause 0x4
	buffer_load_dword v42, off, s[28:31], 0 offset:500
	buffer_load_dword v43, off, s[28:31], 0 offset:56
	buffer_load_dword v44, off, s[28:31], 0 offset:60
	buffer_load_dword v45, off, s[28:31], 0 offset:64
	buffer_load_dword v46, off, s[28:31], 0 offset:68
	v_mad_u64_u32 v[83:84], null, 0xfffff7e0, s0, v[77:78]
	v_add_nc_u32_e32 v84, s8, v84
	global_store_dwordx4 v[73:74], v[28:31], off
	global_store_dwordx4 v[75:76], v[48:51], off
	;; [unrolled: 1-line block ×4, first 2 shown]
	s_clause 0x7
	buffer_load_dword v47, off, s[28:31], 0 offset:24
	buffer_load_dword v48, off, s[28:31], 0 offset:28
	;; [unrolled: 1-line block ×8, first 2 shown]
	v_mul_f64 v[28:29], v[67:68], s[2:3]
	v_mul_f64 v[30:31], v[69:70], s[2:3]
	v_fma_f64 v[24:25], v[85:86], v[24:25], v[79:80]
	v_fma_f64 v[26:27], v[85:86], v[26:27], -v[81:82]
	s_waitcnt vmcnt(12)
	v_mad_u64_u32 v[36:37], null, s0, v42, 0
	s_waitcnt vmcnt(8) lgkmcnt(3)
	v_mul_f64 v[38:39], v[45:46], v[6:7]
	v_mul_f64 v[40:41], v[45:46], v[4:5]
	v_mov_b32_e32 v61, v44
	v_mov_b32_e32 v60, v43
	s_waitcnt vmcnt(4)
	v_mul_f64 v[45:46], v[49:50], v[0:1]
	s_waitcnt vmcnt(2)
	v_mov_b32_e32 v72, v54
	s_waitcnt vmcnt(0) lgkmcnt(2)
	v_mul_f64 v[51:52], v[55:56], v[32:33]
	v_mov_b32_e32 v71, v53
	v_mov_b32_e32 v70, v48
	;; [unrolled: 1-line block ×3, first 2 shown]
	v_add_co_u32 v47, vcc_lo, v83, s5
	v_add_co_ci_u32_e32 v48, vcc_lo, s4, v84, vcc_lo
	v_mad_u64_u32 v[42:43], null, s1, v42, v[37:38]
	v_fma_f64 v[38:39], v[60:61], v[4:5], v[38:39]
	v_fma_f64 v[40:41], v[60:61], v[6:7], -v[40:41]
	s_clause 0x3
	buffer_load_dword v4, off, s[28:31], 0 offset:72
	buffer_load_dword v5, off, s[28:31], 0 offset:76
	buffer_load_dword v6, off, s[28:31], 0 offset:80
	buffer_load_dword v7, off, s[28:31], 0 offset:84
	v_mul_f64 v[43:44], v[49:50], v[2:3]
	v_mul_f64 v[49:50], v[55:56], v[34:35]
	v_mov_b32_e32 v37, v42
	s_waitcnt vmcnt(2)
	v_mov_b32_e32 v74, v5
	s_waitcnt vmcnt(0)
	v_mul_f64 v[53:54], v[6:7], v[14:15]
	v_mul_f64 v[55:56], v[6:7], v[12:13]
	v_mov_b32_e32 v73, v4
	s_clause 0x3
	buffer_load_dword v4, off, s[28:31], 0 offset:88
	buffer_load_dword v5, off, s[28:31], 0 offset:92
	;; [unrolled: 1-line block ×4, first 2 shown]
	s_waitcnt vmcnt(2)
	v_mov_b32_e32 v76, v5
	s_waitcnt vmcnt(0) lgkmcnt(1)
	v_mul_f64 v[57:58], v[6:7], v[10:11]
	v_mul_f64 v[59:60], v[6:7], v[8:9]
	v_mov_b32_e32 v75, v4
	s_clause 0x3
	buffer_load_dword v4, off, s[28:31], 0 offset:136
	buffer_load_dword v5, off, s[28:31], 0 offset:140
	;; [unrolled: 1-line block ×4, first 2 shown]
	s_waitcnt vmcnt(2)
	v_mov_b32_e32 v78, v5
	s_waitcnt vmcnt(0)
	v_mul_f64 v[61:62], v[6:7], v[22:23]
	v_mul_f64 v[63:64], v[6:7], v[20:21]
	v_mov_b32_e32 v77, v4
	s_clause 0x3
	buffer_load_dword v4, off, s[28:31], 0 offset:120
	buffer_load_dword v5, off, s[28:31], 0 offset:124
	;; [unrolled: 1-line block ×4, first 2 shown]
	global_store_dwordx4 v[47:48], v[28:31], off
	v_lshlrev_b64 v[28:29], 4, v[36:37]
	v_fma_f64 v[30:31], v[71:72], v[34:35], -v[51:52]
	v_fma_f64 v[34:35], v[73:74], v[14:15], -v[55:56]
	v_add_co_u32 v36, vcc_lo, v89, v28
	v_add_co_ci_u32_e32 v37, vcc_lo, v90, v29, vcc_lo
	v_fma_f64 v[28:29], v[71:72], v[32:33], v[49:50]
	v_fma_f64 v[32:33], v[73:74], v[12:13], v[53:54]
	v_mul_f64 v[14:15], v[30:31], s[2:3]
	v_mul_f64 v[12:13], v[28:29], s[2:3]
	s_waitcnt vmcnt(0) lgkmcnt(0)
	v_mul_f64 v[65:66], v[6:7], v[18:19]
	v_mul_f64 v[67:68], v[6:7], v[16:17]
	v_mov_b32_e32 v80, v5
	v_mov_b32_e32 v79, v4
	v_mul_f64 v[4:5], v[24:25], s[2:3]
	v_mul_f64 v[6:7], v[26:27], s[2:3]
	v_fma_f64 v[24:25], v[69:70], v[0:1], v[43:44]
	v_fma_f64 v[26:27], v[69:70], v[2:3], -v[45:46]
	v_mul_f64 v[0:1], v[38:39], s[2:3]
	v_mul_f64 v[2:3], v[40:41], s[2:3]
	v_fma_f64 v[38:39], v[75:76], v[8:9], v[57:58]
	v_fma_f64 v[40:41], v[75:76], v[10:11], -v[59:60]
	v_fma_f64 v[42:43], v[77:78], v[20:21], v[61:62]
	v_fma_f64 v[44:45], v[77:78], v[22:23], -v[63:64]
	v_add_co_u32 v46, vcc_lo, v47, s6
	v_add_co_ci_u32_e32 v47, vcc_lo, s7, v48, vcc_lo
	v_add_co_u32 v53, vcc_lo, v46, s5
	v_add_co_ci_u32_e32 v54, vcc_lo, s4, v47, vcc_lo
	v_fma_f64 v[49:50], v[79:80], v[16:17], v[65:66]
	v_fma_f64 v[51:52], v[79:80], v[18:19], -v[67:68]
	v_add_co_u32 v55, vcc_lo, v53, s5
	v_add_co_ci_u32_e32 v56, vcc_lo, s4, v54, vcc_lo
	v_mul_f64 v[8:9], v[24:25], s[2:3]
	v_mul_f64 v[10:11], v[26:27], s[2:3]
	;; [unrolled: 1-line block ×8, first 2 shown]
	v_add_co_u32 v32, vcc_lo, v55, s5
	v_add_co_ci_u32_e32 v33, vcc_lo, s4, v56, vcc_lo
	global_store_dwordx4 v[36:37], v[4:7], off
	v_add_co_u32 v4, vcc_lo, v32, s5
	v_add_co_ci_u32_e32 v5, vcc_lo, s4, v33, vcc_lo
	v_mul_f64 v[28:29], v[49:50], s[2:3]
	v_mul_f64 v[30:31], v[51:52], s[2:3]
	global_store_dwordx4 v[46:47], v[0:3], off
	v_add_co_u32 v0, vcc_lo, v4, s5
	v_add_co_ci_u32_e32 v1, vcc_lo, s4, v5, vcc_lo
	global_store_dwordx4 v[53:54], v[8:11], off
	v_add_co_u32 v2, vcc_lo, v0, s5
	v_add_co_ci_u32_e32 v3, vcc_lo, s4, v1, vcc_lo
	global_store_dwordx4 v[55:56], v[12:15], off
	global_store_dwordx4 v[32:33], v[16:19], off
	;; [unrolled: 1-line block ×5, first 2 shown]
.LBB0_2:
	s_endpgm
	.section	.rodata,"a",@progbits
	.p2align	6, 0x0
	.amdhsa_kernel bluestein_single_fwd_len150_dim1_dp_op_CI_CI
		.amdhsa_group_segment_fixed_size 28800
		.amdhsa_private_segment_fixed_size 692
		.amdhsa_kernarg_size 104
		.amdhsa_user_sgpr_count 6
		.amdhsa_user_sgpr_private_segment_buffer 1
		.amdhsa_user_sgpr_dispatch_ptr 0
		.amdhsa_user_sgpr_queue_ptr 0
		.amdhsa_user_sgpr_kernarg_segment_ptr 1
		.amdhsa_user_sgpr_dispatch_id 0
		.amdhsa_user_sgpr_flat_scratch_init 0
		.amdhsa_user_sgpr_private_segment_size 0
		.amdhsa_wavefront_size32 1
		.amdhsa_uses_dynamic_stack 0
		.amdhsa_system_sgpr_private_segment_wavefront_offset 1
		.amdhsa_system_sgpr_workgroup_id_x 1
		.amdhsa_system_sgpr_workgroup_id_y 0
		.amdhsa_system_sgpr_workgroup_id_z 0
		.amdhsa_system_sgpr_workgroup_info 0
		.amdhsa_system_vgpr_workitem_id 0
		.amdhsa_next_free_vgpr 256
		.amdhsa_next_free_sgpr 32
		.amdhsa_reserve_vcc 1
		.amdhsa_reserve_flat_scratch 0
		.amdhsa_float_round_mode_32 0
		.amdhsa_float_round_mode_16_64 0
		.amdhsa_float_denorm_mode_32 3
		.amdhsa_float_denorm_mode_16_64 3
		.amdhsa_dx10_clamp 1
		.amdhsa_ieee_mode 1
		.amdhsa_fp16_overflow 0
		.amdhsa_workgroup_processor_mode 1
		.amdhsa_memory_ordered 1
		.amdhsa_forward_progress 0
		.amdhsa_shared_vgpr_count 0
		.amdhsa_exception_fp_ieee_invalid_op 0
		.amdhsa_exception_fp_denorm_src 0
		.amdhsa_exception_fp_ieee_div_zero 0
		.amdhsa_exception_fp_ieee_overflow 0
		.amdhsa_exception_fp_ieee_underflow 0
		.amdhsa_exception_fp_ieee_inexact 0
		.amdhsa_exception_int_div_zero 0
	.end_amdhsa_kernel
	.text
.Lfunc_end0:
	.size	bluestein_single_fwd_len150_dim1_dp_op_CI_CI, .Lfunc_end0-bluestein_single_fwd_len150_dim1_dp_op_CI_CI
                                        ; -- End function
	.section	.AMDGPU.csdata,"",@progbits
; Kernel info:
; codeLenInByte = 32288
; NumSgprs: 34
; NumVgprs: 256
; ScratchSize: 692
; MemoryBound: 0
; FloatMode: 240
; IeeeMode: 1
; LDSByteSize: 28800 bytes/workgroup (compile time only)
; SGPRBlocks: 4
; VGPRBlocks: 31
; NumSGPRsForWavesPerEU: 34
; NumVGPRsForWavesPerEU: 256
; Occupancy: 2
; WaveLimiterHint : 1
; COMPUTE_PGM_RSRC2:SCRATCH_EN: 1
; COMPUTE_PGM_RSRC2:USER_SGPR: 6
; COMPUTE_PGM_RSRC2:TRAP_HANDLER: 0
; COMPUTE_PGM_RSRC2:TGID_X_EN: 1
; COMPUTE_PGM_RSRC2:TGID_Y_EN: 0
; COMPUTE_PGM_RSRC2:TGID_Z_EN: 0
; COMPUTE_PGM_RSRC2:TIDIG_COMP_CNT: 0
	.text
	.p2alignl 6, 3214868480
	.fill 48, 4, 3214868480
	.type	__hip_cuid_b7a55a8aed775c96,@object ; @__hip_cuid_b7a55a8aed775c96
	.section	.bss,"aw",@nobits
	.globl	__hip_cuid_b7a55a8aed775c96
__hip_cuid_b7a55a8aed775c96:
	.byte	0                               ; 0x0
	.size	__hip_cuid_b7a55a8aed775c96, 1

	.ident	"AMD clang version 19.0.0git (https://github.com/RadeonOpenCompute/llvm-project roc-6.4.0 25133 c7fe45cf4b819c5991fe208aaa96edf142730f1d)"
	.section	".note.GNU-stack","",@progbits
	.addrsig
	.addrsig_sym __hip_cuid_b7a55a8aed775c96
	.amdgpu_metadata
---
amdhsa.kernels:
  - .args:
      - .actual_access:  read_only
        .address_space:  global
        .offset:         0
        .size:           8
        .value_kind:     global_buffer
      - .actual_access:  read_only
        .address_space:  global
        .offset:         8
        .size:           8
        .value_kind:     global_buffer
      - .actual_access:  read_only
        .address_space:  global
        .offset:         16
        .size:           8
        .value_kind:     global_buffer
      - .actual_access:  read_only
        .address_space:  global
        .offset:         24
        .size:           8
        .value_kind:     global_buffer
      - .actual_access:  read_only
        .address_space:  global
        .offset:         32
        .size:           8
        .value_kind:     global_buffer
      - .offset:         40
        .size:           8
        .value_kind:     by_value
      - .address_space:  global
        .offset:         48
        .size:           8
        .value_kind:     global_buffer
      - .address_space:  global
        .offset:         56
        .size:           8
        .value_kind:     global_buffer
      - .address_space:  global
        .offset:         64
        .size:           8
        .value_kind:     global_buffer
      - .address_space:  global
        .offset:         72
        .size:           8
        .value_kind:     global_buffer
      - .offset:         80
        .size:           4
        .value_kind:     by_value
      - .address_space:  global
        .offset:         88
        .size:           8
        .value_kind:     global_buffer
      - .address_space:  global
        .offset:         96
        .size:           8
        .value_kind:     global_buffer
    .group_segment_fixed_size: 28800
    .kernarg_segment_align: 8
    .kernarg_segment_size: 104
    .language:       OpenCL C
    .language_version:
      - 2
      - 0
    .max_flat_workgroup_size: 60
    .name:           bluestein_single_fwd_len150_dim1_dp_op_CI_CI
    .private_segment_fixed_size: 692
    .sgpr_count:     34
    .sgpr_spill_count: 0
    .symbol:         bluestein_single_fwd_len150_dim1_dp_op_CI_CI.kd
    .uniform_work_group_size: 1
    .uses_dynamic_stack: false
    .vgpr_count:     256
    .vgpr_spill_count: 172
    .wavefront_size: 32
    .workgroup_processor_mode: 1
amdhsa.target:   amdgcn-amd-amdhsa--gfx1030
amdhsa.version:
  - 1
  - 2
...

	.end_amdgpu_metadata
